;; amdgpu-corpus repo=ROCm/rocFFT kind=compiled arch=gfx906 opt=O3
	.text
	.amdgcn_target "amdgcn-amd-amdhsa--gfx906"
	.amdhsa_code_object_version 6
	.protected	fft_rtc_fwd_len150_factors_10_5_3_wgs_60_tpt_5_halfLds_half_op_CI_CI_sbrr_dirReg ; -- Begin function fft_rtc_fwd_len150_factors_10_5_3_wgs_60_tpt_5_halfLds_half_op_CI_CI_sbrr_dirReg
	.globl	fft_rtc_fwd_len150_factors_10_5_3_wgs_60_tpt_5_halfLds_half_op_CI_CI_sbrr_dirReg
	.p2align	8
	.type	fft_rtc_fwd_len150_factors_10_5_3_wgs_60_tpt_5_halfLds_half_op_CI_CI_sbrr_dirReg,@function
fft_rtc_fwd_len150_factors_10_5_3_wgs_60_tpt_5_halfLds_half_op_CI_CI_sbrr_dirReg: ; @fft_rtc_fwd_len150_factors_10_5_3_wgs_60_tpt_5_halfLds_half_op_CI_CI_sbrr_dirReg
; %bb.0:
	s_load_dwordx4 s[16:19], s[4:5], 0x18
	s_load_dwordx4 s[12:15], s[4:5], 0x0
	;; [unrolled: 1-line block ×3, first 2 shown]
	v_mul_u32_u24_e32 v1, 0x3334, v0
	v_lshrrev_b32_e32 v1, 16, v1
	s_waitcnt lgkmcnt(0)
	s_load_dwordx2 s[20:21], s[16:17], 0x0
	s_load_dwordx2 s[2:3], s[18:19], 0x0
	v_mad_u64_u32 v[1:2], s[0:1], s6, 12, v[1:2]
	v_mov_b32_e32 v5, 0
	v_mov_b32_e32 v3, 0
	;; [unrolled: 1-line block ×3, first 2 shown]
	v_cmp_lt_u64_e64 s[0:1], s[14:15], 2
	v_mov_b32_e32 v4, 0
	v_mov_b32_e32 v9, v4
	;; [unrolled: 1-line block ×3, first 2 shown]
	s_and_b64 vcc, exec, s[0:1]
	v_mov_b32_e32 v8, v3
	v_mov_b32_e32 v10, v1
	s_cbranch_vccnz .LBB0_8
; %bb.1:
	s_load_dwordx2 s[0:1], s[4:5], 0x10
	s_add_u32 s6, s18, 8
	s_addc_u32 s7, s19, 0
	s_add_u32 s22, s16, 8
	v_mov_b32_e32 v3, 0
	s_addc_u32 s23, s17, 0
	v_mov_b32_e32 v4, 0
	s_waitcnt lgkmcnt(0)
	s_add_u32 s24, s0, 8
	v_mov_b32_e32 v9, v4
	v_mov_b32_e32 v13, v2
	s_addc_u32 s25, s1, 0
	s_mov_b64 s[26:27], 1
	v_mov_b32_e32 v8, v3
	v_mov_b32_e32 v12, v1
.LBB0_2:                                ; =>This Inner Loop Header: Depth=1
	s_load_dwordx2 s[28:29], s[24:25], 0x0
                                        ; implicit-def: $vgpr10_vgpr11
	s_waitcnt lgkmcnt(0)
	v_or_b32_e32 v6, s29, v13
	v_cmp_ne_u64_e32 vcc, 0, v[5:6]
	s_and_saveexec_b64 s[0:1], vcc
	s_xor_b64 s[30:31], exec, s[0:1]
	s_cbranch_execz .LBB0_4
; %bb.3:                                ;   in Loop: Header=BB0_2 Depth=1
	v_cvt_f32_u32_e32 v2, s28
	v_cvt_f32_u32_e32 v6, s29
	s_sub_u32 s0, 0, s28
	s_subb_u32 s1, 0, s29
	v_mac_f32_e32 v2, 0x4f800000, v6
	v_rcp_f32_e32 v2, v2
	v_mul_f32_e32 v2, 0x5f7ffffc, v2
	v_mul_f32_e32 v6, 0x2f800000, v2
	v_trunc_f32_e32 v6, v6
	v_mac_f32_e32 v2, 0xcf800000, v6
	v_cvt_u32_f32_e32 v6, v6
	v_cvt_u32_f32_e32 v2, v2
	v_mul_lo_u32 v7, s0, v6
	v_mul_hi_u32 v10, s0, v2
	v_mul_lo_u32 v14, s1, v2
	v_mul_lo_u32 v11, s0, v2
	v_add_u32_e32 v7, v10, v7
	v_add_u32_e32 v7, v7, v14
	v_mul_hi_u32 v10, v2, v11
	v_mul_lo_u32 v14, v2, v7
	v_mul_hi_u32 v16, v2, v7
	v_mul_hi_u32 v15, v6, v11
	v_mul_lo_u32 v11, v6, v11
	v_mul_hi_u32 v17, v6, v7
	v_add_co_u32_e32 v10, vcc, v10, v14
	v_addc_co_u32_e32 v14, vcc, 0, v16, vcc
	v_mul_lo_u32 v7, v6, v7
	v_add_co_u32_e32 v10, vcc, v10, v11
	v_addc_co_u32_e32 v10, vcc, v14, v15, vcc
	v_addc_co_u32_e32 v11, vcc, 0, v17, vcc
	v_add_co_u32_e32 v7, vcc, v10, v7
	v_addc_co_u32_e32 v10, vcc, 0, v11, vcc
	v_add_co_u32_e32 v2, vcc, v2, v7
	v_addc_co_u32_e32 v6, vcc, v6, v10, vcc
	v_mul_lo_u32 v7, s0, v6
	v_mul_hi_u32 v10, s0, v2
	v_mul_lo_u32 v11, s1, v2
	v_mul_lo_u32 v14, s0, v2
	v_add_u32_e32 v7, v10, v7
	v_add_u32_e32 v7, v7, v11
	v_mul_lo_u32 v15, v2, v7
	v_mul_hi_u32 v16, v2, v14
	v_mul_hi_u32 v17, v2, v7
	;; [unrolled: 1-line block ×3, first 2 shown]
	v_mul_lo_u32 v14, v6, v14
	v_mul_hi_u32 v10, v6, v7
	v_add_co_u32_e32 v15, vcc, v16, v15
	v_addc_co_u32_e32 v16, vcc, 0, v17, vcc
	v_mul_lo_u32 v7, v6, v7
	v_add_co_u32_e32 v14, vcc, v15, v14
	v_addc_co_u32_e32 v11, vcc, v16, v11, vcc
	v_addc_co_u32_e32 v10, vcc, 0, v10, vcc
	v_add_co_u32_e32 v7, vcc, v11, v7
	v_addc_co_u32_e32 v10, vcc, 0, v10, vcc
	v_add_co_u32_e32 v2, vcc, v2, v7
	v_addc_co_u32_e32 v10, vcc, v6, v10, vcc
	v_mad_u64_u32 v[6:7], s[0:1], v12, v10, 0
	v_mul_hi_u32 v11, v12, v2
	v_add_co_u32_e32 v14, vcc, v11, v6
	v_addc_co_u32_e32 v15, vcc, 0, v7, vcc
	v_mad_u64_u32 v[6:7], s[0:1], v13, v2, 0
	v_mad_u64_u32 v[10:11], s[0:1], v13, v10, 0
	v_add_co_u32_e32 v2, vcc, v14, v6
	v_addc_co_u32_e32 v2, vcc, v15, v7, vcc
	v_addc_co_u32_e32 v6, vcc, 0, v11, vcc
	v_add_co_u32_e32 v2, vcc, v2, v10
	v_addc_co_u32_e32 v10, vcc, 0, v6, vcc
	v_mul_lo_u32 v11, s29, v2
	v_mul_lo_u32 v14, s28, v10
	v_mad_u64_u32 v[6:7], s[0:1], s28, v2, 0
	v_add3_u32 v7, v7, v14, v11
	v_sub_u32_e32 v11, v13, v7
	v_mov_b32_e32 v14, s29
	v_sub_co_u32_e32 v6, vcc, v12, v6
	v_subb_co_u32_e64 v11, s[0:1], v11, v14, vcc
	v_subrev_co_u32_e64 v14, s[0:1], s28, v6
	v_subbrev_co_u32_e64 v11, s[0:1], 0, v11, s[0:1]
	v_cmp_le_u32_e64 s[0:1], s29, v11
	v_cndmask_b32_e64 v15, 0, -1, s[0:1]
	v_cmp_le_u32_e64 s[0:1], s28, v14
	v_cndmask_b32_e64 v14, 0, -1, s[0:1]
	v_cmp_eq_u32_e64 s[0:1], s29, v11
	v_cndmask_b32_e64 v11, v15, v14, s[0:1]
	v_add_co_u32_e64 v14, s[0:1], 2, v2
	v_addc_co_u32_e64 v15, s[0:1], 0, v10, s[0:1]
	v_add_co_u32_e64 v16, s[0:1], 1, v2
	v_addc_co_u32_e64 v17, s[0:1], 0, v10, s[0:1]
	v_subb_co_u32_e32 v7, vcc, v13, v7, vcc
	v_cmp_ne_u32_e64 s[0:1], 0, v11
	v_cmp_le_u32_e32 vcc, s29, v7
	v_cndmask_b32_e64 v11, v17, v15, s[0:1]
	v_cndmask_b32_e64 v15, 0, -1, vcc
	v_cmp_le_u32_e32 vcc, s28, v6
	v_cndmask_b32_e64 v6, 0, -1, vcc
	v_cmp_eq_u32_e32 vcc, s29, v7
	v_cndmask_b32_e32 v6, v15, v6, vcc
	v_cmp_ne_u32_e32 vcc, 0, v6
	v_cndmask_b32_e64 v6, v16, v14, s[0:1]
	v_cndmask_b32_e32 v11, v10, v11, vcc
	v_cndmask_b32_e32 v10, v2, v6, vcc
.LBB0_4:                                ;   in Loop: Header=BB0_2 Depth=1
	s_andn2_saveexec_b64 s[0:1], s[30:31]
	s_cbranch_execz .LBB0_6
; %bb.5:                                ;   in Loop: Header=BB0_2 Depth=1
	v_cvt_f32_u32_e32 v2, s28
	s_sub_i32 s30, 0, s28
	v_mov_b32_e32 v11, v5
	v_rcp_iflag_f32_e32 v2, v2
	v_mul_f32_e32 v2, 0x4f7ffffe, v2
	v_cvt_u32_f32_e32 v2, v2
	v_mul_lo_u32 v6, s30, v2
	v_mul_hi_u32 v6, v2, v6
	v_add_u32_e32 v2, v2, v6
	v_mul_hi_u32 v2, v12, v2
	v_mul_lo_u32 v6, v2, s28
	v_add_u32_e32 v7, 1, v2
	v_sub_u32_e32 v6, v12, v6
	v_subrev_u32_e32 v10, s28, v6
	v_cmp_le_u32_e32 vcc, s28, v6
	v_cndmask_b32_e32 v6, v6, v10, vcc
	v_cndmask_b32_e32 v2, v2, v7, vcc
	v_add_u32_e32 v7, 1, v2
	v_cmp_le_u32_e32 vcc, s28, v6
	v_cndmask_b32_e32 v10, v2, v7, vcc
.LBB0_6:                                ;   in Loop: Header=BB0_2 Depth=1
	s_or_b64 exec, exec, s[0:1]
	v_mul_lo_u32 v2, v11, s28
	v_mul_lo_u32 v14, v10, s29
	v_mad_u64_u32 v[6:7], s[0:1], v10, s28, 0
	s_load_dwordx2 s[0:1], s[22:23], 0x0
	s_load_dwordx2 s[28:29], s[6:7], 0x0
	v_add3_u32 v2, v7, v14, v2
	v_sub_co_u32_e32 v6, vcc, v12, v6
	v_subb_co_u32_e32 v2, vcc, v13, v2, vcc
	s_waitcnt lgkmcnt(0)
	v_mul_lo_u32 v7, s0, v2
	v_mul_lo_u32 v12, s1, v6
	v_mad_u64_u32 v[3:4], s[0:1], s0, v6, v[3:4]
	s_add_u32 s26, s26, 1
	s_addc_u32 s27, s27, 0
	s_add_u32 s6, s6, 8
	v_mul_lo_u32 v2, s28, v2
	v_mul_lo_u32 v13, s29, v6
	v_mad_u64_u32 v[8:9], s[0:1], s28, v6, v[8:9]
	v_add3_u32 v4, v12, v4, v7
	s_addc_u32 s7, s7, 0
	v_mov_b32_e32 v6, s14
	s_add_u32 s22, s22, 8
	v_mov_b32_e32 v7, s15
	s_addc_u32 s23, s23, 0
	v_cmp_ge_u64_e32 vcc, s[26:27], v[6:7]
	s_add_u32 s24, s24, 8
	v_add3_u32 v9, v13, v9, v2
	s_addc_u32 s25, s25, 0
	s_cbranch_vccnz .LBB0_8
; %bb.7:                                ;   in Loop: Header=BB0_2 Depth=1
	v_mov_b32_e32 v13, v11
	v_mov_b32_e32 v12, v10
	s_branch .LBB0_2
.LBB0_8:
	s_load_dwordx2 s[0:1], s[4:5], 0x28
	s_lshl_b64 s[14:15], s[14:15], 3
	s_add_u32 s4, s18, s14
	s_addc_u32 s5, s19, s15
                                        ; implicit-def: $vgpr16
                                        ; implicit-def: $vgpr17
                                        ; implicit-def: $vgpr20
                                        ; implicit-def: $vgpr18
                                        ; implicit-def: $vgpr23
                                        ; implicit-def: $vgpr24
                                        ; implicit-def: $vgpr15
                                        ; implicit-def: $vgpr22
                                        ; implicit-def: $vgpr19
                                        ; implicit-def: $vgpr21
                                        ; implicit-def: $vgpr25
	s_waitcnt lgkmcnt(0)
	v_cmp_gt_u64_e32 vcc, s[0:1], v[10:11]
	v_cmp_le_u64_e64 s[0:1], s[0:1], v[10:11]
	s_and_saveexec_b64 s[6:7], s[0:1]
	s_xor_b64 s[0:1], exec, s[6:7]
	s_cbranch_execz .LBB0_10
; %bb.9:
	s_mov_b32 s6, 0x33333334
	v_mul_hi_u32 v2, v0, s6
                                        ; implicit-def: $vgpr3_vgpr4
	v_mul_u32_u24_e32 v2, 5, v2
	v_sub_u32_e32 v16, v0, v2
	v_add_u32_e32 v17, 5, v16
	v_add_u32_e32 v20, 10, v16
	;; [unrolled: 1-line block ×4, first 2 shown]
	v_or_b32_e32 v24, 40, v16
	v_add_u32_e32 v15, 15, v16
	v_add_u32_e32 v22, 45, v16
	;; [unrolled: 1-line block ×4, first 2 shown]
	v_or_b32_e32 v25, 0x50, v16
                                        ; implicit-def: $vgpr0
.LBB0_10:
	s_or_saveexec_b64 s[6:7], s[0:1]
                                        ; implicit-def: $vgpr49
                                        ; implicit-def: $vgpr48
                                        ; implicit-def: $vgpr50
                                        ; implicit-def: $vgpr47
                                        ; implicit-def: $vgpr53
                                        ; implicit-def: $vgpr46
                                        ; implicit-def: $vgpr54
                                        ; implicit-def: $vgpr44
                                        ; implicit-def: $vgpr56
                                        ; implicit-def: $vgpr32
                                        ; implicit-def: $vgpr59
                                        ; implicit-def: $vgpr51
                                        ; implicit-def: $vgpr60
                                        ; implicit-def: $vgpr38
                                        ; implicit-def: $vgpr62
                                        ; implicit-def: $vgpr39
                                        ; implicit-def: $vgpr63
                                        ; implicit-def: $vgpr41
                                        ; implicit-def: $vgpr64
                                        ; implicit-def: $vgpr31
                                        ; implicit-def: $vgpr36
                                        ; implicit-def: $vgpr28
                                        ; implicit-def: $vgpr61
                                        ; implicit-def: $vgpr6
                                        ; implicit-def: $vgpr65
                                        ; implicit-def: $vgpr14
                                        ; implicit-def: $vgpr66
                                        ; implicit-def: $vgpr27
                                        ; implicit-def: $vgpr67
                                        ; implicit-def: $vgpr30
                                        ; implicit-def: $vgpr55
                                        ; implicit-def: $vgpr52
                                        ; implicit-def: $vgpr57
                                        ; implicit-def: $vgpr45
                                        ; implicit-def: $vgpr35
                                        ; implicit-def: $vgpr58
                                        ; implicit-def: $vgpr43
                                        ; implicit-def: $vgpr40
                                        ; implicit-def: $vgpr42
                                        ; implicit-def: $vgpr34
                                        ; implicit-def: $vgpr5
                                        ; implicit-def: $vgpr29
                                        ; implicit-def: $vgpr7
                                        ; implicit-def: $vgpr26
                                        ; implicit-def: $vgpr33
	s_xor_b64 exec, exec, s[6:7]
	s_cbranch_execz .LBB0_12
; %bb.11:
	s_add_u32 s0, s16, s14
	s_addc_u32 s1, s17, s15
	s_mov_b32 s14, 0x33333334
	v_mul_hi_u32 v2, v0, s14
	s_load_dwordx2 s[0:1], s[0:1], 0x0
	v_mul_u32_u24_e32 v2, 5, v2
	v_sub_u32_e32 v16, v0, v2
	s_waitcnt lgkmcnt(0)
	v_mul_lo_u32 v2, s1, v10
	v_mul_lo_u32 v14, s0, v11
	v_mad_u64_u32 v[12:13], s[0:1], s0, v10, 0
	v_mad_u64_u32 v[5:6], s[14:15], s20, v16, 0
	v_add3_u32 v13, v13, v14, v2
	v_lshlrev_b64 v[12:13], 2, v[12:13]
	v_mov_b32_e32 v0, v6
	v_mad_u64_u32 v[6:7], s[0:1], s21, v16, v[0:1]
	v_mov_b32_e32 v0, s9
	v_add_co_u32_e64 v7, s[0:1], s8, v12
	v_lshlrev_b64 v[2:3], 2, v[3:4]
	v_addc_co_u32_e64 v12, s[0:1], v0, v13, s[0:1]
	v_add_co_u32_e64 v0, s[0:1], v7, v2
	v_add_u32_e32 v15, 15, v16
	v_addc_co_u32_e64 v2, s[0:1], v12, v3, s[0:1]
	v_lshlrev_b64 v[3:4], 2, v[5:6]
	v_mad_u64_u32 v[5:6], s[0:1], s20, v15, 0
	v_add_co_u32_e64 v3, s[0:1], v0, v3
	v_add_u32_e32 v18, 30, v16
	v_addc_co_u32_e64 v4, s[0:1], v2, v4, s[0:1]
	v_mad_u64_u32 v[6:7], s[0:1], s21, v15, v[6:7]
	v_mad_u64_u32 v[12:13], s[0:1], s20, v18, 0
	global_load_dword v30, v[3:4], off
	v_lshlrev_b64 v[3:4], 2, v[5:6]
	v_mov_b32_e32 v5, v13
	v_mad_u64_u32 v[5:6], s[0:1], s21, v18, v[5:6]
	v_add_u32_e32 v22, 45, v16
	v_mad_u64_u32 v[6:7], s[0:1], s20, v22, 0
	v_add_co_u32_e64 v3, s[0:1], v0, v3
	v_mov_b32_e32 v13, v5
	v_mov_b32_e32 v5, v7
	v_addc_co_u32_e64 v4, s[0:1], v2, v4, s[0:1]
	v_mad_u64_u32 v[19:20], s[0:1], s21, v22, v[5:6]
	v_add_u32_e32 v14, 60, v16
	v_mad_u64_u32 v[20:21], s[0:1], s20, v14, 0
	v_lshlrev_b64 v[12:13], 2, v[12:13]
	v_mov_b32_e32 v7, v19
	v_add_co_u32_e64 v12, s[0:1], v0, v12
	v_lshlrev_b64 v[5:6], 2, v[6:7]
	v_mov_b32_e32 v7, v21
	v_addc_co_u32_e64 v13, s[0:1], v2, v13, s[0:1]
	v_mad_u64_u32 v[23:24], s[0:1], s21, v14, v[7:8]
	v_add_u32_e32 v14, 0x4b, v16
	v_mad_u64_u32 v[24:25], s[0:1], s20, v14, 0
	v_add_co_u32_e64 v28, s[0:1], v0, v5
	v_mov_b32_e32 v21, v23
	v_mov_b32_e32 v7, v25
	v_addc_co_u32_e64 v29, s[0:1], v2, v6, s[0:1]
	v_lshlrev_b64 v[5:6], 2, v[20:21]
	v_mad_u64_u32 v[19:20], s[0:1], s21, v14, v[7:8]
	v_add_u32_e32 v14, 0x5a, v16
	v_mad_u64_u32 v[20:21], s[0:1], s20, v14, 0
	v_add_co_u32_e64 v31, s[0:1], v0, v5
	v_mov_b32_e32 v25, v19
	v_mov_b32_e32 v7, v21
	v_addc_co_u32_e64 v32, s[0:1], v2, v6, s[0:1]
	v_lshlrev_b64 v[5:6], 2, v[24:25]
	;; [unrolled: 8-line block ×3, first 2 shown]
	v_mad_u64_u32 v[19:20], s[0:1], s21, v14, v[7:8]
	v_or_b32_e32 v14, 0x78, v16
	v_mad_u64_u32 v[20:21], s[0:1], s20, v14, 0
	v_add_co_u32_e64 v33, s[0:1], v0, v5
	v_mov_b32_e32 v25, v19
	v_mov_b32_e32 v7, v21
	v_addc_co_u32_e64 v34, s[0:1], v2, v6, s[0:1]
	v_lshlrev_b64 v[5:6], 2, v[24:25]
	v_mad_u64_u32 v[23:24], s[0:1], s21, v14, v[7:8]
	v_add_u32_e32 v14, 0x87, v16
	v_mad_u64_u32 v[24:25], s[0:1], s20, v14, 0
	v_add_co_u32_e64 v35, s[0:1], v0, v5
	v_mov_b32_e32 v21, v23
	v_mov_b32_e32 v7, v25
	v_addc_co_u32_e64 v36, s[0:1], v2, v6, s[0:1]
	v_lshlrev_b64 v[5:6], 2, v[20:21]
	v_mad_u64_u32 v[19:20], s[0:1], s21, v14, v[7:8]
	v_add_co_u32_e64 v20, s[0:1], v0, v5
	v_mov_b32_e32 v25, v19
	v_addc_co_u32_e64 v21, s[0:1], v2, v6, s[0:1]
	v_lshlrev_b64 v[5:6], 2, v[24:25]
	v_add_u32_e32 v17, 5, v16
	v_add_co_u32_e64 v24, s[0:1], v0, v5
	v_addc_co_u32_e64 v25, s[0:1], v2, v6, s[0:1]
	v_mad_u64_u32 v[37:38], s[0:1], s20, v17, 0
	global_load_dword v5, v[35:36], off
	global_load_dword v6, v[33:34], off
	;; [unrolled: 1-line block ×3, first 2 shown]
	v_add_u32_e32 v19, 20, v16
	v_mov_b32_e32 v14, v38
	v_mad_u64_u32 v[34:35], s[0:1], s21, v17, v[14:15]
	global_load_dword v14, v[31:32], off
	global_load_dword v26, v[28:29], off
	;; [unrolled: 1-line block ×4, first 2 shown]
	v_mad_u64_u32 v[12:13], s[0:1], s20, v19, 0
	v_mov_b32_e32 v38, v34
	v_lshlrev_b64 v[3:4], 2, v[37:38]
	v_add_u32_e32 v23, 35, v16
	v_add_co_u32_e64 v3, s[0:1], v0, v3
	v_addc_co_u32_e64 v4, s[0:1], v2, v4, s[0:1]
	global_load_dword v28, v[20:21], off
	global_load_dword v29, v[24:25], off
	;; [unrolled: 1-line block ×3, first 2 shown]
	v_add_u32_e32 v24, 50, v16
	v_mad_u64_u32 v[20:21], s[0:1], s20, v24, 0
	v_add_u32_e32 v32, 0x5f, v16
	s_waitcnt vmcnt(10)
	v_lshrrev_b32_e32 v67, 16, v30
	s_waitcnt vmcnt(8)
	v_lshrrev_b32_e32 v61, 16, v6
	s_waitcnt vmcnt(6)
	v_mad_u64_u32 v[34:35], s[0:1], s21, v19, v[13:14]
	v_mad_u64_u32 v[35:36], s[0:1], s20, v23, 0
	v_mov_b32_e32 v13, v34
	v_lshlrev_b64 v[3:4], 2, v[12:13]
	v_mov_b32_e32 v12, v36
	v_mad_u64_u32 v[12:13], s[0:1], s21, v23, v[12:13]
	v_add_co_u32_e64 v3, s[0:1], v0, v3
	v_addc_co_u32_e64 v4, s[0:1], v2, v4, s[0:1]
	v_mad_u64_u32 v[24:25], s[0:1], s21, v24, v[21:22]
	v_mov_b32_e32 v36, v12
	v_add_u32_e32 v25, 0x41, v16
	v_lshlrev_b64 v[12:13], 2, v[35:36]
	v_mad_u64_u32 v[34:35], s[0:1], s20, v25, 0
	v_add_co_u32_e64 v12, s[0:1], v0, v12
	v_mov_b32_e32 v21, v24
	v_mov_b32_e32 v24, v35
	v_addc_co_u32_e64 v13, s[0:1], v2, v13, s[0:1]
	v_mad_u64_u32 v[24:25], s[0:1], s21, v25, v[24:25]
	v_or_b32_e32 v25, 0x50, v16
	v_mad_u64_u32 v[36:37], s[0:1], s20, v25, 0
	v_lshlrev_b64 v[20:21], 2, v[20:21]
	v_mov_b32_e32 v35, v24
	v_add_co_u32_e64 v43, s[0:1], v0, v20
	v_addc_co_u32_e64 v44, s[0:1], v2, v21, s[0:1]
	v_mov_b32_e32 v24, v37
	v_mad_u64_u32 v[38:39], s[0:1], s20, v32, 0
	v_lshlrev_b64 v[20:21], 2, v[34:35]
	v_mad_u64_u32 v[34:35], s[0:1], s21, v25, v[24:25]
	v_add_co_u32_e64 v45, s[0:1], v0, v20
	v_mov_b32_e32 v24, v39
	v_addc_co_u32_e64 v46, s[0:1], v2, v21, s[0:1]
	v_mov_b32_e32 v37, v34
	v_mad_u64_u32 v[34:35], s[0:1], s21, v32, v[24:25]
	v_lshlrev_b64 v[20:21], 2, v[36:37]
	v_add_u32_e32 v32, 0x6e, v16
	v_add_co_u32_e64 v35, s[0:1], v0, v20
	v_mov_b32_e32 v39, v34
	v_addc_co_u32_e64 v36, s[0:1], v2, v21, s[0:1]
	v_lshlrev_b64 v[20:21], 2, v[38:39]
	v_mad_u64_u32 v[39:40], s[0:1], s20, v32, 0
	v_add_co_u32_e64 v20, s[0:1], v0, v20
	v_mov_b32_e32 v24, v40
	v_addc_co_u32_e64 v21, s[0:1], v2, v21, s[0:1]
	v_mad_u64_u32 v[37:38], s[0:1], s21, v32, v[24:25]
	global_load_dword v38, v[20:21], off
	v_add_u32_e32 v32, 0x7d, v16
	v_mad_u64_u32 v[41:42], s[0:1], s20, v32, 0
	v_mov_b32_e32 v40, v37
	v_lshlrev_b64 v[20:21], 2, v[39:40]
	v_mov_b32_e32 v24, v42
	v_mad_u64_u32 v[39:40], s[0:1], s21, v32, v[24:25]
	v_add_u32_e32 v32, 0x8c, v16
	v_mad_u64_u32 v[47:48], s[0:1], s20, v32, 0
	v_add_co_u32_e64 v49, s[0:1], v0, v20
	v_mov_b32_e32 v24, v48
	v_addc_co_u32_e64 v50, s[0:1], v2, v21, s[0:1]
	v_mov_b32_e32 v42, v39
	v_mad_u64_u32 v[39:40], s[0:1], s21, v32, v[24:25]
	v_lshlrev_b64 v[20:21], 2, v[41:42]
	v_or_b32_e32 v24, 40, v16
	v_add_co_u32_e64 v52, s[0:1], v0, v20
	v_mov_b32_e32 v48, v39
	v_add_u32_e32 v20, 10, v16
	v_addc_co_u32_e64 v53, s[0:1], v2, v21, s[0:1]
	v_lshlrev_b64 v[39:40], 2, v[47:48]
	v_mad_u64_u32 v[47:48], s[0:1], s20, v20, 0
	v_add_co_u32_e64 v54, s[0:1], v0, v39
	v_mov_b32_e32 v21, v48
	v_addc_co_u32_e64 v55, s[0:1], v2, v40, s[0:1]
	global_load_dword v40, v[35:36], off
	v_mad_u64_u32 v[35:36], s[0:1], s21, v20, v[21:22]
	v_add_u32_e32 v21, 25, v16
	global_load_dword v39, v[45:46], off
	global_load_dword v42, v[43:44], off
	;; [unrolled: 1-line block ×4, first 2 shown]
	v_mov_b32_e32 v48, v35
	v_mad_u64_u32 v[12:13], s[0:1], s20, v21, 0
	v_lshlrev_b64 v[3:4], 2, v[47:48]
	v_add_u32_e32 v46, 55, v16
	v_add_co_u32_e64 v3, s[0:1], v0, v3
	v_addc_co_u32_e64 v4, s[0:1], v2, v4, s[0:1]
	v_mad_u64_u32 v[35:36], s[0:1], s21, v21, v[13:14]
	v_mad_u64_u32 v[36:37], s[0:1], s20, v24, 0
	v_mov_b32_e32 v13, v35
	global_load_dword v43, v[54:55], off
	global_load_dword v32, v[3:4], off
	v_lshlrev_b64 v[3:4], 2, v[12:13]
	v_mov_b32_e32 v12, v37
	v_mad_u64_u32 v[12:13], s[0:1], s21, v24, v[12:13]
	v_mad_u64_u32 v[44:45], s[0:1], s20, v46, 0
	v_add_co_u32_e64 v3, s[0:1], v0, v3
	v_mov_b32_e32 v37, v12
	v_mov_b32_e32 v35, v45
	v_addc_co_u32_e64 v4, s[0:1], v2, v4, s[0:1]
	v_lshlrev_b64 v[12:13], 2, v[36:37]
	v_mad_u64_u32 v[35:36], s[0:1], s21, v46, v[35:36]
	v_add_co_u32_e64 v12, s[0:1], v0, v12
	v_add_u32_e32 v37, 0x46, v16
	v_addc_co_u32_e64 v13, s[0:1], v2, v13, s[0:1]
	v_mad_u64_u32 v[46:47], s[0:1], s20, v37, 0
	v_mov_b32_e32 v45, v35
	v_lshlrev_b64 v[35:36], 2, v[44:45]
	s_waitcnt vmcnt(12)
	v_lshrrev_b32_e32 v66, 16, v27
	v_add_co_u32_e64 v54, s[0:1], v0, v35
	v_mov_b32_e32 v35, v47
	v_addc_co_u32_e64 v55, s[0:1], v2, v36, s[0:1]
	v_mad_u64_u32 v[36:37], s[0:1], s21, v37, v[35:36]
	global_load_dword v45, v[54:55], off
	global_load_dword v44, v[12:13], off
	;; [unrolled: 1-line block ×5, first 2 shown]
	v_add_u32_e32 v52, 0x82, v16
	v_mov_b32_e32 v47, v36
	v_add_u32_e32 v36, 0x55, v16
	v_mad_u64_u32 v[12:13], s[0:1], s20, v36, 0
	v_lshlrev_b64 v[3:4], 2, v[46:47]
	v_add_u32_e32 v54, 0x91, v16
	v_add_co_u32_e64 v3, s[0:1], v0, v3
	v_addc_co_u32_e64 v4, s[0:1], v2, v4, s[0:1]
	v_mad_u64_u32 v[36:37], s[0:1], s21, v36, v[13:14]
	v_add_u32_e32 v37, 0x64, v16
	v_mad_u64_u32 v[47:48], s[0:1], s20, v37, 0
	v_mov_b32_e32 v13, v36
	global_load_dword v46, v[3:4], off
	v_lshlrev_b64 v[3:4], 2, v[12:13]
	v_mov_b32_e32 v12, v48
	v_mad_u64_u32 v[12:13], s[0:1], s21, v37, v[12:13]
	v_add_co_u32_e64 v3, s[0:1], v0, v3
	v_mov_b32_e32 v48, v12
	v_lshlrev_b64 v[12:13], 2, v[47:48]
	v_add_u32_e32 v47, 0x73, v16
	v_addc_co_u32_e64 v4, s[0:1], v2, v4, s[0:1]
	v_mad_u64_u32 v[36:37], s[0:1], s20, v47, 0
	v_add_co_u32_e64 v12, s[0:1], v0, v12
	v_addc_co_u32_e64 v13, s[0:1], v2, v13, s[0:1]
	s_waitcnt vmcnt(13)
	v_mad_u64_u32 v[48:49], s[0:1], s21, v47, v[37:38]
	v_mad_u64_u32 v[49:50], s[0:1], s20, v52, 0
	v_mov_b32_e32 v37, v48
	global_load_dword v47, v[12:13], off
	v_lshlrev_b64 v[12:13], 2, v[36:37]
	v_mov_b32_e32 v36, v50
	v_mad_u64_u32 v[36:37], s[0:1], s21, v52, v[36:37]
	v_mad_u64_u32 v[52:53], s[0:1], s20, v54, 0
	v_add_co_u32_e64 v12, s[0:1], v0, v12
	v_mov_b32_e32 v50, v36
	v_mov_b32_e32 v48, v53
	v_addc_co_u32_e64 v13, s[0:1], v2, v13, s[0:1]
	v_lshlrev_b64 v[36:37], 2, v[49:50]
	v_mad_u64_u32 v[48:49], s[0:1], s21, v54, v[48:49]
	v_add_co_u32_e64 v36, s[0:1], v0, v36
	v_mov_b32_e32 v53, v48
	v_lshlrev_b64 v[48:49], 2, v[52:53]
	v_addc_co_u32_e64 v37, s[0:1], v2, v37, s[0:1]
	v_add_co_u32_e64 v53, s[0:1], v0, v48
	v_addc_co_u32_e64 v54, s[0:1], v2, v49, s[0:1]
	global_load_dword v52, v[53:54], off
	global_load_dword v48, v[36:37], off
	;; [unrolled: 1-line block ×4, first 2 shown]
	v_lshrrev_b32_e32 v65, 16, v14
	v_lshrrev_b32_e32 v36, 16, v28
	;; [unrolled: 1-line block ×3, first 2 shown]
	s_waitcnt vmcnt(14)
	v_lshrrev_b32_e32 v63, 16, v41
	v_lshrrev_b32_e32 v62, 16, v39
	;; [unrolled: 1-line block ×3, first 2 shown]
	s_waitcnt vmcnt(11)
	v_lshrrev_b32_e32 v56, 16, v32
	s_waitcnt vmcnt(9)
	v_lshrrev_b32_e32 v54, 16, v44
	;; [unrolled: 2-line block ×6, first 2 shown]
.LBB0_12:
	s_or_b64 exec, exec, s[6:7]
	s_mov_b32 s0, 0xaaaaaaab
	v_mul_hi_u32 v0, v1, s0
	v_lshlrev_b32_e32 v12, 2, v16
	v_mov_b32_e32 v13, 0
	v_lshlrev_b64 v[2:3], 2, v[12:13]
	v_lshrrev_b32_e32 v0, 3, v0
	v_mul_lo_u32 v0, v0, 12
	v_sub_f16_e32 v12, v28, v6
	v_sub_f16_e32 v37, v6, v28
	s_movk_i32 s8, 0x3b9c
	v_sub_u32_e32 v0, v1, v0
	v_sub_f16_e32 v1, v27, v14
	v_add_f16_e32 v1, v12, v1
	v_sub_f16_e32 v12, v14, v27
	v_add_f16_e32 v12, v37, v12
	v_add_f16_e32 v37, v28, v27
	s_mov_b32 s9, 0xbb9c
	v_fma_f16 v37, v37, -0.5, v30
	v_sub_f16_e32 v69, v65, v61
	s_movk_i32 s7, 0x38b4
	s_mov_b32 s14, 0xb8b4
	v_sub_f16_e32 v68, v66, v36
	v_fma_f16 v70, v69, s9, v37
	v_fma_f16 v37, v69, s8, v37
	s_movk_i32 s6, 0x34f2
	v_fma_f16 v70, v68, s7, v70
	v_fma_f16 v37, v68, s14, v37
	;; [unrolled: 1-line block ×4, first 2 shown]
	v_pk_add_f16 v37, v26, v7 neg_lo:[0,1] neg_hi:[0,1]
	v_pk_add_f16 v71, v29, v5 neg_lo:[0,1] neg_hi:[0,1]
	v_pk_add_f16 v37, v71, v37
	v_sub_f16_sdwa v71, v26, v7 dst_sel:DWORD dst_unused:UNUSED_PAD src0_sel:WORD_1 src1_sel:WORD_1
	v_sub_f16_sdwa v72, v29, v5 dst_sel:DWORD dst_unused:UNUSED_PAD src0_sel:WORD_1 src1_sel:WORD_1
	v_add_f16_e32 v71, v72, v71
	v_pk_add_f16 v72, v7, v26 neg_lo:[0,1] neg_hi:[0,1]
	v_pk_add_f16 v73, v5, v29 neg_lo:[0,1] neg_hi:[0,1]
	v_pk_add_f16 v72, v73, v72
	v_pk_add_f16 v73, v29, v26
	v_pk_add_f16 v74, v7, v5 neg_lo:[0,1] neg_hi:[0,1]
	v_pk_fma_f16 v73, v73, 0.5, v33 op_sel_hi:[1,0,1] neg_lo:[1,0,0] neg_hi:[1,0,0]
	v_pk_mul_f16 v75, v74, s8 op_sel_hi:[1,0]
	v_pk_add_f16 v76, v75, v73 op_sel:[1,0] op_sel_hi:[0,1]
	v_pk_add_f16 v73, v73, v75 op_sel:[0,1] op_sel_hi:[1,0] neg_lo:[0,1] neg_hi:[0,1]
	v_pk_add_f16 v75, v26, v29 neg_lo:[0,1] neg_hi:[0,1]
	v_pk_mul_f16 v77, v75, s7 op_sel_hi:[1,0]
	v_pk_add_f16 v76, v76, v77 op_sel:[0,1] op_sel_hi:[1,0] neg_lo:[0,1] neg_hi:[0,1]
	v_pk_add_f16 v73, v77, v73 op_sel:[1,0] op_sel_hi:[0,1]
	v_pk_fma_f16 v76, v72, s6, v76 op_sel_hi:[1,0,1]
	v_pk_fma_f16 v72, v72, s6, v73 op_sel_hi:[1,0,1]
	v_mov_b32_e32 v4, s13
	v_add_co_u32_e64 v2, s[0:1], s12, v2
	v_mul_f16_e32 v73, 0x34f2, v72
	v_lshrrev_b32_e32 v77, 16, v76
	v_addc_co_u32_e64 v3, s[0:1], v4, v3, s[0:1]
	v_fma_f16 v73, v77, s8, v73
	v_mul_f16_e32 v77, 0x34f2, v76
	v_lshrrev_b32_e32 v78, 16, v72
	v_fma_f16 v77, v78, s8, -v77
	v_add_f16_e32 v82, v5, v7
	s_mov_b32 s0, 0xffff
	v_add_f16_e32 v78, v70, v73
	v_add_f16_e32 v79, v12, v77
	v_fma_f16 v82, v82, -0.5, v33
	v_bfi_b32 v37, s0, v37, v74
	s_mov_b32 s1, 0x38b434f2
	v_lshrrev_b32_e32 v84, 16, v75
	v_pack_b32_f16 v78, v78, v79
	v_add_f16_e32 v79, v6, v14
	v_pk_mul_f16 v83, v37, s1
	v_fma_f16 v37, v84, s8, v82
	v_fma_f16 v79, v79, -0.5, v30
	v_add_f16_sdwa v37, v83, v37 dst_sel:DWORD dst_unused:UNUSED_PAD src0_sel:WORD_1 src1_sel:DWORD
	v_fma_f16 v80, v68, s8, v79
	v_add_f16_e32 v81, v26, v33
	v_add_f16_e32 v85, v83, v37
	v_lshrrev_b32_e32 v33, 16, v33
	v_add_f16_sdwa v37, v5, v7 dst_sel:DWORD dst_unused:UNUSED_PAD src0_sel:WORD_1 src1_sel:WORD_1
	v_fma_f16 v68, v68, s9, v79
	v_fma_f16 v80, v69, s7, v80
	v_fma_f16 v86, v37, -0.5, v33
	v_fma_f16 v68, v69, s14, v68
	v_fma_f16 v80, v1, s6, v80
	v_fma_f16 v37, v75, s9, v86
	v_fma_f16 v1, v1, s6, v68
	v_fma_f16 v68, v84, s9, v82
	v_fma_f16 v37, v74, s14, v37
	v_sub_f16_sdwa v68, v68, v83 dst_sel:DWORD dst_unused:UNUSED_PAD src0_sel:DWORD src1_sel:WORD_1
	v_add_f16_e32 v30, v27, v30
	v_fma_f16 v87, v71, s6, v37
	v_mul_f16_e32 v37, 0x3a79, v85
	v_add_f16_e32 v92, v83, v68
	v_fma_f16 v68, v75, s8, v86
	v_add_f16_e32 v30, v14, v30
	v_add_f16_e32 v81, v7, v81
	v_fma_f16 v88, v87, s7, v37
	v_fma_f16 v68, v74, s7, v68
	v_add_f16_e32 v30, v6, v30
	v_add_f16_e32 v81, v5, v81
	v_fma_f16 v93, v71, s6, v68
	v_sub_f16_e32 v68, v80, v88
	v_sub_f16_e32 v69, v70, v73
	v_add_f16_e32 v30, v28, v30
	v_add_f16_e32 v81, v29, v81
	v_mul_u32_u24_e32 v0, 0x96, v0
	v_pack_b32_f16 v68, v68, v69
	v_mul_f16_e32 v69, 0x3a79, v92
	v_add_f16_e32 v37, v81, v30
	v_add_f16_e32 v89, v80, v88
	v_lshlrev_b32_e32 v0, 1, v0
	v_fma_f16 v69, v93, s7, -v69
	v_pack_b32_f16 v89, v37, v89
	v_mul_u32_u24_e32 v90, 10, v16
	v_add_u32_e32 v37, 0, v0
	v_sub_f16_e32 v30, v30, v81
	v_add_f16_e32 v70, v1, v69
	v_lshl_add_u32 v91, v90, 1, v37
	v_pack_b32_f16 v30, v70, v30
	ds_write2_b32 v91, v30, v68 offset0:2 offset1:3
	v_sub_f16_e32 v30, v41, v39
	v_sub_f16_e32 v68, v51, v38
	;; [unrolled: 1-line block ×3, first 2 shown]
	v_add_f16_e32 v30, v68, v30
	v_sub_f16_e32 v68, v39, v41
	v_sub_f16_e32 v69, v38, v51
	v_add_f16_e32 v68, v69, v68
	v_add_f16_e32 v69, v51, v41
	v_fma_f16 v69, v69, -0.5, v31
	v_sub_f16_e32 v71, v62, v60
	v_sub_f16_e32 v70, v63, v59
	v_fma_f16 v73, v71, s9, v69
	v_fma_f16 v69, v71, s8, v69
	;; [unrolled: 1-line block ×6, first 2 shown]
	v_pk_add_f16 v69, v42, v40 neg_lo:[0,1] neg_hi:[0,1]
	v_pk_add_f16 v74, v43, v58 neg_lo:[0,1] neg_hi:[0,1]
	v_pk_add_f16 v69, v74, v69
	v_sub_f16_sdwa v74, v42, v40 dst_sel:DWORD dst_unused:UNUSED_PAD src0_sel:WORD_1 src1_sel:WORD_1
	v_sub_f16_sdwa v75, v43, v58 dst_sel:DWORD dst_unused:UNUSED_PAD src0_sel:WORD_1 src1_sel:WORD_1
	ds_write2_b32 v91, v89, v78 offset1:1
	v_add_f16_e32 v74, v75, v74
	v_pk_add_f16 v75, v40, v42 neg_lo:[0,1] neg_hi:[0,1]
	v_pk_add_f16 v78, v58, v43 neg_lo:[0,1] neg_hi:[0,1]
	v_pk_add_f16 v75, v78, v75
	v_pk_add_f16 v78, v43, v42
	v_pk_add_f16 v79, v40, v58 neg_lo:[0,1] neg_hi:[0,1]
	v_pk_fma_f16 v78, v78, 0.5, v34 op_sel_hi:[1,0,1] neg_lo:[1,0,0] neg_hi:[1,0,0]
	v_pk_mul_f16 v80, v79, s8 op_sel_hi:[1,0]
	v_pk_add_f16 v81, v80, v78 op_sel:[1,0] op_sel_hi:[0,1]
	v_pk_add_f16 v78, v78, v80 op_sel:[0,1] op_sel_hi:[1,0] neg_lo:[0,1] neg_hi:[0,1]
	v_pk_add_f16 v80, v42, v43 neg_lo:[0,1] neg_hi:[0,1]
	v_pk_mul_f16 v82, v80, s7 op_sel_hi:[1,0]
	v_pk_add_f16 v81, v81, v82 op_sel:[0,1] op_sel_hi:[1,0] neg_lo:[0,1] neg_hi:[0,1]
	v_pk_add_f16 v78, v82, v78 op_sel:[1,0] op_sel_hi:[0,1]
	v_pk_fma_f16 v94, v75, s6, v81 op_sel_hi:[1,0,1]
	v_pk_fma_f16 v95, v75, s6, v78 op_sel_hi:[1,0,1]
	v_mul_f16_e32 v75, 0x34f2, v95
	v_lshrrev_b32_e32 v78, 16, v94
	v_fma_f16 v75, v78, s8, v75
	v_mul_f16_e32 v78, 0x34f2, v94
	v_lshrrev_b32_e32 v81, 16, v95
	v_sub_f16_e32 v12, v12, v77
	v_add_f16_e32 v82, v58, v40
	v_fma_f16 v78, v81, s8, -v78
	v_pack_b32_f16 v1, v12, v1
	v_fma_f16 v82, v82, -0.5, v34
	v_bfi_b32 v69, s0, v69, v79
	v_lshrrev_b32_e32 v83, 16, v80
	ds_write_b32 v91, v1 offset:16
	v_add_f16_e32 v1, v73, v75
	v_add_f16_e32 v12, v68, v78
	;; [unrolled: 1-line block ×3, first 2 shown]
	v_pk_mul_f16 v69, v69, s1
	v_fma_f16 v84, v83, s8, v82
	v_lshrrev_b32_e32 v97, 16, v34
	v_add_f16_sdwa v34, v58, v40 dst_sel:DWORD dst_unused:UNUSED_PAD src0_sel:WORD_1 src1_sel:WORD_1
	v_pack_b32_f16 v1, v1, v12
	v_add_f16_e32 v12, v38, v39
	v_add_f16_sdwa v84, v69, v84 dst_sel:DWORD dst_unused:UNUSED_PAD src0_sel:WORD_1 src1_sel:DWORD
	v_fma_f16 v34, v34, -0.5, v97
	v_fma_f16 v12, v12, -0.5, v31
	v_add_f16_e32 v31, v41, v31
	v_add_f16_e32 v96, v69, v84
	v_fma_f16 v84, v80, s9, v34
	v_add_f16_e32 v31, v39, v31
	v_fma_f16 v77, v70, s8, v12
	;; [unrolled: 2-line block ×5, first 2 shown]
	v_mul_f16_e32 v84, 0x3a79, v96
	v_add_f16_e32 v31, v51, v31
	v_fma_f16 v77, v30, s6, v77
	v_add_f16_e32 v81, v43, v81
	v_fma_f16 v84, v98, s7, v84
	v_add_f16_e32 v86, v81, v31
	v_add_f16_e32 v88, v77, v84
	v_pack_b32_f16 v86, v86, v88
	v_mul_i32_i24_e32 v88, 10, v17
	v_lshl_add_u32 v99, v88, 1, v37
	ds_write2_b32 v99, v86, v1 offset1:1
	v_fma_f16 v1, v70, s9, v12
	v_fma_f16 v1, v71, s14, v1
	;; [unrolled: 1-line block ×5, first 2 shown]
	v_sub_f16_sdwa v12, v12, v69 dst_sel:DWORD dst_unused:UNUSED_PAD src0_sel:DWORD src1_sel:WORD_1
	v_fma_f16 v30, v79, s7, v30
	v_add_f16_e32 v12, v69, v12
	v_fma_f16 v100, v74, s6, v30
	v_sub_f16_e32 v30, v31, v81
	v_sub_f16_e32 v31, v77, v84
	;; [unrolled: 1-line block ×3, first 2 shown]
	v_pack_b32_f16 v31, v31, v34
	v_mul_f16_e32 v34, 0x3a79, v12
	v_fma_f16 v34, v100, s7, -v34
	v_add_f16_e32 v69, v1, v34
	v_pack_b32_f16 v30, v69, v30
	ds_write2_b32 v99, v30, v31 offset0:2 offset1:3
	v_sub_f16_e32 v30, v44, v46
	v_sub_f16_e32 v31, v48, v47
	;; [unrolled: 1-line block ×3, first 2 shown]
	v_add_f16_e32 v30, v31, v30
	v_sub_f16_e32 v31, v46, v44
	v_sub_f16_e32 v34, v47, v48
	v_add_f16_e32 v31, v34, v31
	v_add_f16_e32 v34, v48, v44
	v_fma_f16 v34, v34, -0.5, v32
	v_sub_f16_e32 v70, v53, v50
	v_sub_f16_e32 v69, v54, v49
	v_fma_f16 v71, v70, s9, v34
	v_fma_f16 v34, v70, s8, v34
	;; [unrolled: 1-line block ×6, first 2 shown]
	s_waitcnt vmcnt(0)
	v_pk_add_f16 v34, v45, v57 neg_lo:[0,1] neg_hi:[0,1]
	v_pk_add_f16 v73, v52, v55 neg_lo:[0,1] neg_hi:[0,1]
	v_pk_add_f16 v34, v73, v34
	v_sub_f16_sdwa v73, v45, v57 dst_sel:DWORD dst_unused:UNUSED_PAD src0_sel:WORD_1 src1_sel:WORD_1
	v_sub_f16_sdwa v74, v52, v55 dst_sel:DWORD dst_unused:UNUSED_PAD src0_sel:WORD_1 src1_sel:WORD_1
	v_add_f16_e32 v73, v74, v73
	v_pk_add_f16 v74, v57, v45 neg_lo:[0,1] neg_hi:[0,1]
	v_pk_add_f16 v75, v55, v52 neg_lo:[0,1] neg_hi:[0,1]
	v_pk_add_f16 v74, v75, v74
	v_pk_add_f16 v75, v52, v45
	v_pk_add_f16 v77, v57, v55 neg_lo:[0,1] neg_hi:[0,1]
	v_pk_fma_f16 v75, v75, 0.5, v35 op_sel_hi:[1,0,1] neg_lo:[1,0,0] neg_hi:[1,0,0]
	v_pk_mul_f16 v79, v77, s8 op_sel_hi:[1,0]
	v_pk_add_f16 v80, v79, v75 op_sel:[1,0] op_sel_hi:[0,1]
	v_pk_add_f16 v75, v75, v79 op_sel:[0,1] op_sel_hi:[1,0] neg_lo:[0,1] neg_hi:[0,1]
	v_pk_add_f16 v79, v45, v52 neg_lo:[0,1] neg_hi:[0,1]
	v_pk_mul_f16 v81, v79, s7 op_sel_hi:[1,0]
	v_pk_add_f16 v80, v80, v81 op_sel:[0,1] op_sel_hi:[1,0] neg_lo:[0,1] neg_hi:[0,1]
	v_pk_add_f16 v75, v81, v75 op_sel:[1,0] op_sel_hi:[0,1]
	v_pk_fma_f16 v101, v74, s6, v80 op_sel_hi:[1,0,1]
	v_pk_fma_f16 v102, v74, s6, v75 op_sel_hi:[1,0,1]
	v_mul_f16_e32 v74, 0x34f2, v102
	v_lshrrev_b32_e32 v75, 16, v101
	v_fma_f16 v74, v75, s8, v74
	v_mul_f16_e32 v75, 0x34f2, v101
	v_lshrrev_b32_e32 v80, 16, v102
	v_sub_f16_e32 v68, v68, v78
	v_add_f16_e32 v81, v55, v57
	v_fma_f16 v75, v80, s8, -v75
	v_pack_b32_f16 v1, v68, v1
	v_fma_f16 v81, v81, -0.5, v35
	v_bfi_b32 v34, s0, v34, v77
	v_lshrrev_b32_e32 v82, 16, v79
	ds_write_b32 v99, v1 offset:16
	v_add_f16_e32 v1, v71, v74
	v_add_f16_e32 v68, v31, v75
	;; [unrolled: 1-line block ×3, first 2 shown]
	v_pk_mul_f16 v34, v34, s1
	v_fma_f16 v83, v82, s8, v81
	v_lshrrev_b32_e32 v104, 16, v35
	v_add_f16_sdwa v35, v55, v57 dst_sel:DWORD dst_unused:UNUSED_PAD src0_sel:WORD_1 src1_sel:WORD_1
	v_pack_b32_f16 v1, v1, v68
	v_add_f16_e32 v68, v47, v46
	v_add_f16_sdwa v83, v34, v83 dst_sel:DWORD dst_unused:UNUSED_PAD src0_sel:WORD_1 src1_sel:DWORD
	v_fma_f16 v35, v35, -0.5, v104
	v_fma_f16 v68, v68, -0.5, v32
	v_add_f16_e32 v32, v44, v32
	v_add_f16_e32 v103, v34, v83
	v_fma_f16 v83, v79, s9, v35
	v_add_f16_e32 v32, v46, v32
	v_fma_f16 v78, v69, s8, v68
	;; [unrolled: 2-line block ×5, first 2 shown]
	v_mul_f16_e32 v83, 0x3a79, v103
	v_add_f16_e32 v32, v48, v32
	v_fma_f16 v78, v30, s6, v78
	v_add_f16_e32 v80, v52, v80
	v_fma_f16 v83, v105, s7, v83
	v_add_f16_e32 v84, v80, v32
	v_add_f16_e32 v86, v78, v83
	v_pack_b32_f16 v84, v84, v86
	v_mul_i32_i24_e32 v86, 10, v20
	v_lshl_add_u32 v106, v86, 1, v37
	ds_write2_b32 v106, v84, v1 offset1:1
	v_fma_f16 v1, v69, s9, v68
	v_fma_f16 v1, v70, s14, v1
	v_fma_f16 v1, v30, s6, v1
	v_fma_f16 v30, v82, s9, v81
	v_sub_f16_sdwa v30, v30, v34 dst_sel:DWORD dst_unused:UNUSED_PAD src0_sel:DWORD src1_sel:WORD_1
	v_add_f16_e32 v107, v34, v30
	v_fma_f16 v30, v79, s8, v35
	v_fma_f16 v30, v77, s7, v30
	v_sub_f16_e32 v109, v27, v28
	v_sub_f16_e32 v6, v14, v6
	;; [unrolled: 1-line block ×4, first 2 shown]
	v_fma_f16 v108, v73, s6, v30
	v_sub_f16_e32 v30, v32, v80
	v_sub_f16_e32 v32, v78, v83
	;; [unrolled: 1-line block ×3, first 2 shown]
	v_add_f16_e32 v110, v27, v14
	v_add_f16_e32 v27, v66, v67
	v_pack_b32_f16 v32, v32, v34
	v_mul_f16_e32 v34, 0x3a79, v107
	v_add_f16_e32 v14, v61, v65
	v_add_f16_e32 v27, v65, v27
	v_fma_f16 v34, v108, s7, -v34
	v_fma_f16 v111, v14, -0.5, v67
	v_add_f16_e32 v14, v36, v66
	v_add_f16_e32 v27, v61, v27
	v_add_f16_sdwa v26, v26, v33 dst_sel:DWORD dst_unused:UNUSED_PAD src0_sel:WORD_1 src1_sel:DWORD
	v_add_f16_e32 v35, v1, v34
	v_fma_f16 v14, v14, -0.5, v67
	v_sub_f16_e32 v28, v65, v66
	v_add_f16_e32 v112, v36, v27
	v_sub_f16_e32 v27, v61, v36
	v_add_f16_sdwa v7, v7, v26 dst_sel:DWORD dst_unused:UNUSED_PAD src0_sel:WORD_1 src1_sel:DWORD
	v_sub_f16_e32 v1, v1, v34
	v_sub_f16_e32 v26, v31, v75
	v_add_f16_e32 v27, v27, v28
	v_fma_f16 v28, v6, s8, v14
	v_fma_f16 v14, v6, s9, v14
	v_pack_b32_f16 v1, v26, v1
	v_fma_f16 v28, v109, s14, v28
	v_fma_f16 v14, v109, s7, v14
	ds_write_b32 v106, v1 offset:16
	v_fma_f16 v1, v109, s9, v111
	v_add_f16_sdwa v5, v5, v7 dst_sel:DWORD dst_unused:UNUSED_PAD src0_sel:WORD_1 src1_sel:DWORD
	s_movk_i32 s1, 0x3a79
	v_mul_f16_e32 v7, 0xb8b4, v85
	v_pack_b32_f16 v14, v14, v28
	v_mul_f16_e32 v27, 0x34f2, v27
	s_mov_b32 s16, 0x34f23b9c
	v_fma_f16 v1, v6, s14, v1
	v_add_f16_sdwa v5, v29, v5 dst_sel:DWORD dst_unused:UNUSED_PAD src0_sel:WORD_1 src1_sel:DWORD
	v_fma_f16 v7, v87, s1, v7
	v_pk_add_f16 v113, v27, v14 op_sel_hi:[0,1]
	s_mov_b32 s15, 0x34f2bb9c
	v_pk_mul_f16 v14, v72, s16
	v_fma_f16 v1, v110, s6, v1
	v_pk_fma_f16 v114, v76, s15, v14 op_sel:[0,0,1] op_sel_hi:[1,1,0] neg_lo:[0,0,1] neg_hi:[0,0,1]
	v_add_f16_e32 v14, v5, v112
	v_add_f16_e32 v26, v1, v7
	v_pack_b32_f16 v115, v14, v26
	v_lshlrev_b32_e32 v14, 1, v16
	v_add3_u32 v26, 0, v14, v0
	v_pk_add_f16 v0, v113, v114
	v_pack_b32_f16 v30, v35, v30
	v_add_u32_e32 v27, v37, v14
	v_alignbit_b32 v0, v0, v0, 16
	ds_write2_b32 v106, v30, v32 offset0:2 offset1:3
	s_load_dwordx2 s[4:5], s[4:5], 0x0
	s_waitcnt lgkmcnt(0)
	; wave barrier
	s_waitcnt lgkmcnt(0)
	v_lshl_add_u32 v28, v18, 1, v37
	v_lshl_add_u32 v33, v17, 1, v37
	;; [unrolled: 1-line block ×9, first 2 shown]
	ds_read_u16 v69, v27
	ds_read_u16 v116, v28
	ds_read_u16 v73, v26 offset:100
	ds_read_u16 v70, v26 offset:110
	;; [unrolled: 1-line block ×12, first 2 shown]
	ds_read_u16 v67, v29
	ds_read_u16 v89, v30
	;; [unrolled: 1-line block ×6, first 2 shown]
	ds_read_u16 v88, v26 offset:200
	ds_read_u16 v81, v26 offset:210
	;; [unrolled: 1-line block ×7, first 2 shown]
	ds_read_u16 v87, v35
	ds_read_u16 v68, v33
	ds_read_u16 v74, v26 offset:290
	s_waitcnt lgkmcnt(0)
	; wave barrier
	s_waitcnt lgkmcnt(0)
	ds_write2_b32 v91, v115, v0 offset1:1
	v_fma_f16 v0, v109, s8, v111
	v_fma_f16 v0, v6, s7, v0
	v_mul_f16_e32 v6, 0x3a79, v93
	v_fma_f16 v0, v110, s6, v0
	v_fma_f16 v6, v92, s14, -v6
	v_bfi_b32 v1, s0, v1, v113
	v_bfi_b32 v7, s0, v7, v114
	v_sub_f16_e32 v5, v112, v5
	v_pk_add_f16 v1, v1, v7 neg_lo:[0,1] neg_hi:[0,1]
	v_add_f16_e32 v7, v0, v6
	v_pack_b32_f16 v5, v7, v5
	ds_write2_b32 v91, v5, v1 offset0:2 offset1:3
	v_sub_f16_e32 v0, v0, v6
	v_sub_f16_e32 v1, v113, v114
	v_pack_b32_f16 v0, v1, v0
	v_add_f16_e32 v7, v59, v63
	ds_write_b32 v91, v0 offset:16
	v_sub_f16_e32 v0, v41, v51
	v_sub_f16_e32 v1, v39, v38
	;; [unrolled: 1-line block ×4, first 2 shown]
	v_fma_f16 v7, v7, -0.5, v64
	v_sub_f16_e32 v39, v62, v63
	v_sub_f16_e32 v41, v60, v59
	v_add_f16_e32 v5, v6, v5
	v_add_f16_e32 v6, v60, v62
	;; [unrolled: 1-line block ×3, first 2 shown]
	v_add_f16_sdwa v41, v42, v97 dst_sel:DWORD dst_unused:UNUSED_PAD src0_sel:WORD_1 src1_sel:DWORD
	v_fma_f16 v42, v1, s8, v7
	v_fma_f16 v7, v1, s9, v7
	v_fma_f16 v6, v6, -0.5, v64
	v_fma_f16 v42, v0, s14, v42
	v_fma_f16 v7, v0, s7, v7
	v_add_f16_e32 v38, v63, v64
	v_pack_b32_f16 v7, v7, v42
	v_mul_f16_e32 v39, 0x34f2, v39
	v_fma_f16 v42, v0, s9, v6
	v_add_f16_e32 v38, v62, v38
	v_add_f16_sdwa v40, v40, v41 dst_sel:DWORD dst_unused:UNUSED_PAD src0_sel:WORD_1 src1_sel:DWORD
	v_mul_f16_e32 v41, 0xb8b4, v96
	v_pk_add_f16 v7, v39, v7 op_sel_hi:[0,1]
	v_pk_mul_f16 v39, v95, s16
	v_fma_f16 v42, v1, s14, v42
	v_fma_f16 v0, v0, s8, v6
	v_add_f16_e32 v38, v60, v38
	v_add_f16_sdwa v40, v58, v40 dst_sel:DWORD dst_unused:UNUSED_PAD src0_sel:WORD_1 src1_sel:DWORD
	v_fma_f16 v41, v98, s1, v41
	v_pk_fma_f16 v39, v94, s15, v39 op_sel:[0,0,1] op_sel_hi:[1,1,0] neg_lo:[0,0,1] neg_hi:[0,0,1]
	v_fma_f16 v42, v5, s6, v42
	v_fma_f16 v0, v1, s7, v0
	v_mul_f16_e32 v1, 0x3a79, v100
	v_add_f16_e32 v38, v59, v38
	v_add_f16_sdwa v40, v43, v40 dst_sel:DWORD dst_unused:UNUSED_PAD src0_sel:WORD_1 src1_sel:DWORD
	v_fma_f16 v0, v5, s6, v0
	v_fma_f16 v1, v12, s14, -v1
	v_bfi_b32 v6, s0, v42, v7
	v_bfi_b32 v12, s0, v41, v39
	v_add_f16_e32 v43, v40, v38
	v_add_f16_e32 v51, v42, v41
	v_sub_f16_e32 v5, v38, v40
	v_pk_add_f16 v6, v6, v12 neg_lo:[0,1] neg_hi:[0,1]
	v_add_f16_e32 v12, v0, v1
	v_pack_b32_f16 v43, v43, v51
	v_pk_add_f16 v51, v7, v39
	v_pack_b32_f16 v5, v12, v5
	v_sub_f16_e32 v0, v0, v1
	v_sub_f16_e32 v1, v7, v39
	v_add_f16_e32 v7, v49, v54
	ds_write2_b32 v99, v5, v6 offset0:2 offset1:3
	v_pack_b32_f16 v0, v1, v0
	v_sub_f16_e32 v1, v46, v47
	v_sub_f16_e32 v5, v54, v53
	;; [unrolled: 1-line block ×3, first 2 shown]
	v_fma_f16 v7, v7, -0.5, v56
	ds_write_b32 v99, v0 offset:16
	v_sub_f16_e32 v0, v44, v48
	v_add_f16_e32 v5, v6, v5
	v_add_f16_e32 v6, v50, v53
	v_sub_f16_e32 v38, v53, v54
	v_sub_f16_e32 v39, v50, v49
	v_fma_f16 v41, v1, s8, v7
	v_fma_f16 v7, v1, s9, v7
	v_fma_f16 v6, v6, -0.5, v56
	v_add_f16_e32 v12, v54, v56
	v_add_f16_e32 v38, v39, v38
	v_add_f16_sdwa v39, v45, v104 dst_sel:DWORD dst_unused:UNUSED_PAD src0_sel:WORD_1 src1_sel:DWORD
	v_fma_f16 v41, v0, s14, v41
	v_fma_f16 v7, v0, s7, v7
	v_add_f16_e32 v12, v53, v12
	v_add_f16_sdwa v39, v57, v39 dst_sel:DWORD dst_unused:UNUSED_PAD src0_sel:WORD_1 src1_sel:DWORD
	v_pack_b32_f16 v7, v7, v41
	v_mul_f16_e32 v38, 0x34f2, v38
	v_fma_f16 v41, v0, s9, v6
	v_add_f16_e32 v12, v50, v12
	v_add_f16_sdwa v39, v55, v39 dst_sel:DWORD dst_unused:UNUSED_PAD src0_sel:WORD_1 src1_sel:DWORD
	v_mul_f16_e32 v40, 0xb8b4, v103
	v_pk_add_f16 v7, v38, v7 op_sel_hi:[0,1]
	v_pk_mul_f16 v38, v102, s16
	v_fma_f16 v41, v1, s14, v41
	v_fma_f16 v0, v0, s8, v6
	v_alignbit_b32 v51, v51, v51, 16
	v_add_f16_e32 v12, v49, v12
	v_add_f16_sdwa v39, v52, v39 dst_sel:DWORD dst_unused:UNUSED_PAD src0_sel:WORD_1 src1_sel:DWORD
	v_fma_f16 v40, v105, s1, v40
	v_pk_fma_f16 v38, v101, s15, v38 op_sel:[0,0,1] op_sel_hi:[1,1,0] neg_lo:[0,0,1] neg_hi:[0,0,1]
	v_fma_f16 v41, v5, s6, v41
	v_fma_f16 v0, v1, s7, v0
	v_mul_f16_e32 v1, 0x3a79, v108
	ds_write2_b32 v99, v43, v51 offset1:1
	v_add_f16_e32 v42, v39, v12
	v_add_f16_e32 v43, v41, v40
	v_fma_f16 v0, v5, s6, v0
	v_fma_f16 v1, v107, s14, -v1
	v_sub_f16_e32 v5, v12, v39
	v_bfi_b32 v6, s0, v41, v7
	v_bfi_b32 v12, s0, v40, v38
	v_pack_b32_f16 v42, v42, v43
	v_pk_add_f16 v43, v7, v38
	v_pk_add_f16 v6, v6, v12 neg_lo:[0,1] neg_hi:[0,1]
	v_add_f16_e32 v12, v0, v1
	v_sub_f16_e32 v0, v0, v1
	v_sub_f16_e32 v1, v7, v38
	v_alignbit_b32 v43, v43, v43, 16
	v_pack_b32_f16 v5, v12, v5
	v_pack_b32_f16 v0, v1, v0
	ds_write2_b32 v106, v42, v43 offset1:1
	ds_write2_b32 v106, v5, v6 offset0:2 offset1:3
	ds_write_b32 v106, v0 offset:16
	s_waitcnt lgkmcnt(0)
	; wave barrier
	s_waitcnt lgkmcnt(0)
	global_load_dwordx4 v[0:3], v[2:3], off
	v_lshlrev_b32_e32 v12, 2, v17
	v_lshlrev_b64 v[5:6], 2, v[12:13]
	v_add_co_u32_e64 v5, s[0:1], s12, v5
	v_addc_co_u32_e64 v6, s[0:1], v4, v6, s[0:1]
	global_load_dwordx4 v[4:7], v[5:6], off
	ds_read_u16 v39, v26 offset:150
	ds_read_u16 v42, v26 offset:140
	ds_read_u16 v41, v26 offset:130
	ds_read_u16 v12, v28
	ds_read_u16 v40, v26 offset:100
	ds_read_u16 v38, v26 offset:120
	;; [unrolled: 1-line block ×3, first 2 shown]
	ds_read_u16 v44, v27
	s_movk_i32 s0, 0xcd
	ds_read_u16 v58, v26 offset:210
	ds_read_u16 v59, v26 offset:220
	;; [unrolled: 1-line block ×5, first 2 shown]
	s_waitcnt vmcnt(1) lgkmcnt(9)
	v_mul_f16_sdwa v45, v12, v0 dst_sel:DWORD dst_unused:UNUSED_PAD src0_sel:DWORD src1_sel:WORD_1
	v_fma_f16 v47, v116, v0, -v45
	v_mul_f16_sdwa v45, v116, v0 dst_sel:DWORD dst_unused:UNUSED_PAD src0_sel:DWORD src1_sel:WORD_1
	v_fma_f16 v45, v12, v0, v45
	s_waitcnt lgkmcnt(7)
	v_mul_f16_sdwa v12, v38, v1 dst_sel:DWORD dst_unused:UNUSED_PAD src0_sel:DWORD src1_sel:WORD_1
	v_fma_f16 v48, v117, v1, -v12
	v_mul_f16_sdwa v12, v117, v1 dst_sel:DWORD dst_unused:UNUSED_PAD src0_sel:DWORD src1_sel:WORD_1
	v_fma_f16 v46, v38, v1, v12
	v_mul_lo_u16_sdwa v12, v19, s0 dst_sel:DWORD dst_unused:UNUSED_PAD src0_sel:BYTE_0 src1_sel:DWORD
	v_lshrrev_b16_e32 v12, 11, v12
	ds_read_u16 v38, v26 offset:180
	v_mul_lo_u16_e32 v12, 10, v12
	v_sub_u16_e32 v12, v19, v12
	v_and_b32_e32 v12, 0xff, v12
	v_lshlrev_b32_e32 v49, 4, v12
	global_load_dwordx4 v[50:53], v49, s[12:13]
	s_waitcnt lgkmcnt(0)
	v_mul_f16_sdwa v49, v38, v2 dst_sel:DWORD dst_unused:UNUSED_PAD src0_sel:DWORD src1_sel:WORD_1
	v_fma_f16 v94, v118, v2, -v49
	v_mul_f16_sdwa v49, v118, v2 dst_sel:DWORD dst_unused:UNUSED_PAD src0_sel:DWORD src1_sel:WORD_1
	v_fma_f16 v49, v38, v2, v49
	v_mul_lo_u16_sdwa v38, v21, s0 dst_sel:DWORD dst_unused:UNUSED_PAD src0_sel:BYTE_0 src1_sel:DWORD
	v_lshrrev_b16_e32 v38, 11, v38
	v_mul_lo_u16_e32 v38, 10, v38
	v_sub_u16_e32 v38, v21, v38
	v_and_b32_e32 v38, 0xff, v38
	v_lshlrev_b32_e32 v54, 4, v38
	ds_read_u16 v92, v26 offset:160
	ds_read_u16 v93, v26 offset:170
	global_load_dwordx4 v[54:57], v54, s[12:13]
	ds_read_u16 v60, v26 offset:240
	ds_read_u16 v95, v30
	ds_read_u16 v96, v26 offset:270
	ds_read_u16 v97, v26 offset:280
	;; [unrolled: 1-line block ×3, first 2 shown]
	ds_read_u16 v99, v35
	ds_read_u16 v100, v33
	ds_read_u16 v101, v26 offset:260
	ds_read_u16 v102, v26 offset:250
	v_lshl_add_u32 v12, v12, 1, v37
	s_movk_i32 s0, 0x96
	s_waitcnt lgkmcnt(8)
	v_mul_f16_sdwa v62, v60, v3 dst_sel:DWORD dst_unused:UNUSED_PAD src0_sel:DWORD src1_sel:WORD_1
	s_waitcnt lgkmcnt(7)
	v_mul_f16_sdwa v107, v95, v0 dst_sel:DWORD dst_unused:UNUSED_PAD src0_sel:DWORD src1_sel:WORD_1
	v_fma_f16 v107, v89, v0, -v107
	v_mul_f16_sdwa v89, v89, v0 dst_sel:DWORD dst_unused:UNUSED_PAD src0_sel:DWORD src1_sel:WORD_1
	v_fma_f16 v0, v95, v0, v89
	v_mul_f16_sdwa v89, v42, v1 dst_sel:DWORD dst_unused:UNUSED_PAD src0_sel:DWORD src1_sel:WORD_1
	v_fma_f16 v89, v86, v1, -v89
	v_mul_f16_sdwa v86, v86, v1 dst_sel:DWORD dst_unused:UNUSED_PAD src0_sel:DWORD src1_sel:WORD_1
	v_fma_f16 v1, v42, v1, v86
	v_mul_f16_sdwa v42, v64, v2 dst_sel:DWORD dst_unused:UNUSED_PAD src0_sel:DWORD src1_sel:WORD_1
	v_mul_f16_sdwa v86, v88, v2 dst_sel:DWORD dst_unused:UNUSED_PAD src0_sel:DWORD src1_sel:WORD_1
	v_fma_f16 v42, v88, v2, -v42
	v_fma_f16 v2, v64, v2, v86
	s_waitcnt lgkmcnt(1)
	v_mul_f16_sdwa v64, v101, v3 dst_sel:DWORD dst_unused:UNUSED_PAD src0_sel:DWORD src1_sel:WORD_1
	v_fma_f16 v103, v90, v3, -v62
	v_mul_f16_sdwa v62, v90, v3 dst_sel:DWORD dst_unused:UNUSED_PAD src0_sel:DWORD src1_sel:WORD_1
	v_fma_f16 v64, v84, v3, -v64
	v_mul_f16_sdwa v84, v84, v3 dst_sel:DWORD dst_unused:UNUSED_PAD src0_sel:DWORD src1_sel:WORD_1
	v_fma_f16 v90, v60, v3, v62
	v_fma_f16 v3, v101, v3, v84
	s_waitcnt vmcnt(2)
	v_mul_f16_sdwa v84, v99, v4 dst_sel:DWORD dst_unused:UNUSED_PAD src0_sel:DWORD src1_sel:WORD_1
	v_fma_f16 v84, v87, v4, -v84
	v_mul_f16_sdwa v86, v87, v4 dst_sel:DWORD dst_unused:UNUSED_PAD src0_sel:DWORD src1_sel:WORD_1
	v_mul_f16_sdwa v87, v41, v5 dst_sel:DWORD dst_unused:UNUSED_PAD src0_sel:DWORD src1_sel:WORD_1
	ds_read_u16 v62, v34
	ds_read_u16 v60, v36
	;; [unrolled: 1-line block ×5, first 2 shown]
	v_fma_f16 v87, v83, v5, -v87
	v_mul_f16_sdwa v83, v83, v5 dst_sel:DWORD dst_unused:UNUSED_PAD src0_sel:DWORD src1_sel:WORD_1
	v_fma_f16 v41, v41, v5, v83
	v_mul_f16_sdwa v83, v91, v6 dst_sel:DWORD dst_unused:UNUSED_PAD src0_sel:DWORD src1_sel:WORD_1
	v_fma_f16 v83, v85, v6, -v83
	v_mul_f16_sdwa v85, v85, v6 dst_sel:DWORD dst_unused:UNUSED_PAD src0_sel:DWORD src1_sel:WORD_1
	v_fma_f16 v85, v91, v6, v85
	s_waitcnt lgkmcnt(2)
	v_mul_f16_sdwa v91, v104, v4 dst_sel:DWORD dst_unused:UNUSED_PAD src0_sel:DWORD src1_sel:WORD_1
	v_fma_f16 v91, v82, v4, -v91
	v_mul_f16_sdwa v82, v82, v4 dst_sel:DWORD dst_unused:UNUSED_PAD src0_sel:DWORD src1_sel:WORD_1
	v_fma_f16 v86, v99, v4, v86
	v_fma_f16 v82, v104, v4, v82
	v_mul_f16_sdwa v4, v39, v5 dst_sel:DWORD dst_unused:UNUSED_PAD src0_sel:DWORD src1_sel:WORD_1
	v_fma_f16 v95, v79, v5, -v4
	v_mul_f16_sdwa v4, v79, v5 dst_sel:DWORD dst_unused:UNUSED_PAD src0_sel:DWORD src1_sel:WORD_1
	v_fma_f16 v79, v39, v5, v4
	v_mul_f16_sdwa v4, v58, v6 dst_sel:DWORD dst_unused:UNUSED_PAD src0_sel:DWORD src1_sel:WORD_1
	v_fma_f16 v99, v81, v6, -v4
	v_mul_f16_sdwa v4, v81, v6 dst_sel:DWORD dst_unused:UNUSED_PAD src0_sel:DWORD src1_sel:WORD_1
	v_mul_f16_sdwa v88, v102, v7 dst_sel:DWORD dst_unused:UNUSED_PAD src0_sel:DWORD src1_sel:WORD_1
	v_fma_f16 v81, v58, v6, v4
	v_mul_f16_sdwa v4, v96, v7 dst_sel:DWORD dst_unused:UNUSED_PAD src0_sel:DWORD src1_sel:WORD_1
	v_fma_f16 v88, v80, v7, -v88
	v_mul_f16_sdwa v80, v80, v7 dst_sel:DWORD dst_unused:UNUSED_PAD src0_sel:DWORD src1_sel:WORD_1
	v_fma_f16 v101, v78, v7, -v4
	v_mul_f16_sdwa v4, v78, v7 dst_sel:DWORD dst_unused:UNUSED_PAD src0_sel:DWORD src1_sel:WORD_1
	v_fma_f16 v80, v102, v7, v80
	v_fma_f16 v7, v96, v7, v4
	v_sub_f16_e32 v5, v103, v94
	v_sub_f16_e32 v6, v45, v90
	s_waitcnt lgkmcnt(0)
	; wave barrier
	s_waitcnt vmcnt(1) lgkmcnt(0)
	v_mul_f16_sdwa v4, v40, v50 dst_sel:DWORD dst_unused:UNUSED_PAD src0_sel:DWORD src1_sel:WORD_1
	v_fma_f16 v78, v73, v50, -v4
	v_mul_f16_sdwa v4, v73, v50 dst_sel:DWORD dst_unused:UNUSED_PAD src0_sel:DWORD src1_sel:WORD_1
	v_fma_f16 v73, v40, v50, v4
	v_mul_f16_sdwa v4, v92, v51 dst_sel:DWORD dst_unused:UNUSED_PAD src0_sel:DWORD src1_sel:WORD_1
	v_fma_f16 v96, v75, v51, -v4
	v_mul_f16_sdwa v4, v75, v51 dst_sel:DWORD dst_unused:UNUSED_PAD src0_sel:DWORD src1_sel:WORD_1
	v_fma_f16 v75, v92, v51, v4
	;; [unrolled: 4-line block ×4, first 2 shown]
	s_waitcnt vmcnt(0)
	v_mul_f16_sdwa v4, v43, v54 dst_sel:DWORD dst_unused:UNUSED_PAD src0_sel:DWORD src1_sel:WORD_1
	v_fma_f16 v97, v70, v54, -v4
	v_mul_f16_sdwa v4, v70, v54 dst_sel:DWORD dst_unused:UNUSED_PAD src0_sel:DWORD src1_sel:WORD_1
	v_fma_f16 v70, v43, v54, v4
	v_mul_f16_sdwa v4, v93, v55 dst_sel:DWORD dst_unused:UNUSED_PAD src0_sel:DWORD src1_sel:WORD_1
	v_fma_f16 v104, v76, v55, -v4
	v_mul_f16_sdwa v4, v76, v55 dst_sel:DWORD dst_unused:UNUSED_PAD src0_sel:DWORD src1_sel:WORD_1
	v_fma_f16 v76, v93, v55, v4
	;; [unrolled: 4-line block ×4, first 2 shown]
	v_sub_f16_e32 v4, v47, v48
	v_add_f16_e32 v4, v4, v5
	v_add_f16_e32 v5, v48, v94
	v_fma_f16 v5, v5, -0.5, v69
	v_fma_f16 v39, v6, s8, v5
	v_sub_f16_e32 v40, v46, v49
	v_fma_f16 v5, v6, s9, v5
	v_fma_f16 v39, v40, s7, v39
	;; [unrolled: 1-line block ×5, first 2 shown]
	v_sub_f16_e32 v5, v48, v47
	v_sub_f16_e32 v43, v94, v103
	v_add_f16_e32 v5, v5, v43
	v_add_f16_e32 v43, v47, v103
	v_fma_f16 v43, v43, -0.5, v69
	v_fma_f16 v50, v40, s9, v43
	v_fma_f16 v40, v40, s8, v43
	;; [unrolled: 1-line block ×6, first 2 shown]
	v_add_f16_e32 v6, v69, v47
	v_add_f16_e32 v6, v6, v48
	v_sub_f16_e32 v43, v47, v103
	v_sub_f16_e32 v47, v48, v94
	;; [unrolled: 1-line block ×4, first 2 shown]
	v_add_f16_e32 v48, v48, v50
	v_add_f16_e32 v50, v46, v49
	v_fma_f16 v50, v50, -0.5, v44
	v_fma_f16 v51, v43, s9, v50
	v_fma_f16 v50, v43, s8, v50
	;; [unrolled: 1-line block ×4, first 2 shown]
	v_add_f16_e32 v6, v6, v94
	v_fma_f16 v69, v48, s6, v51
	v_fma_f16 v94, v48, s6, v50
	v_add_f16_e32 v48, v45, v90
	v_fma_f16 v48, v48, -0.5, v44
	v_add_f16_e32 v44, v44, v45
	v_add_f16_e32 v44, v44, v46
	;; [unrolled: 1-line block ×3, first 2 shown]
	v_sub_f16_e32 v45, v46, v45
	v_add_f16_e32 v98, v44, v90
	v_sub_f16_e32 v44, v49, v90
	v_add_f16_e32 v44, v45, v44
	v_fma_f16 v45, v47, s8, v48
	v_fma_f16 v46, v47, s9, v48
	;; [unrolled: 1-line block ×4, first 2 shown]
	v_add_f16_e32 v6, v6, v103
	v_fma_f16 v90, v44, s6, v45
	v_fma_f16 v103, v44, s6, v43
	v_sub_f16_e32 v43, v84, v87
	v_sub_f16_e32 v44, v88, v83
	v_add_f16_e32 v43, v43, v44
	v_add_f16_e32 v44, v87, v83
	v_fma_f16 v44, v44, -0.5, v68
	v_sub_f16_e32 v45, v86, v80
	v_fma_f16 v46, v45, s8, v44
	v_sub_f16_e32 v47, v41, v85
	v_fma_f16 v44, v45, s9, v44
	v_fma_f16 v46, v47, s7, v46
	;; [unrolled: 1-line block ×5, first 2 shown]
	v_sub_f16_e32 v44, v87, v84
	v_sub_f16_e32 v48, v83, v88
	v_add_f16_e32 v44, v44, v48
	v_add_f16_e32 v48, v84, v88
	v_fma_f16 v48, v48, -0.5, v68
	v_fma_f16 v49, v47, s9, v48
	v_sub_f16_e32 v50, v86, v41
	v_sub_f16_e32 v51, v80, v85
	v_fma_f16 v47, v47, s8, v48
	v_fma_f16 v48, v45, s7, v49
	v_add_f16_e32 v50, v50, v51
	v_add_f16_e32 v51, v41, v85
	v_fma_f16 v45, v45, s14, v47
	v_fma_f16 v47, v44, s6, v48
	v_sub_f16_e32 v48, v84, v88
	v_fma_f16 v51, v51, -0.5, v100
	v_fma_f16 v44, v44, s6, v45
	v_add_f16_e32 v45, v68, v84
	v_sub_f16_e32 v49, v87, v83
	v_fma_f16 v52, v48, s9, v51
	v_fma_f16 v51, v48, s8, v51
	v_add_f16_e32 v45, v45, v87
	v_fma_f16 v51, v49, s7, v51
	v_add_f16_e32 v45, v45, v83
	;; [unrolled: 2-line block ×5, first 2 shown]
	v_add_f16_e32 v51, v51, v85
	v_fma_f16 v50, v50, -0.5, v100
	v_sub_f16_e32 v41, v41, v86
	v_add_f16_e32 v84, v51, v80
	v_sub_f16_e32 v51, v85, v80
	v_add_f16_e32 v41, v41, v51
	v_fma_f16 v51, v49, s8, v50
	v_fma_f16 v49, v49, s9, v50
	;; [unrolled: 1-line block ×6, first 2 shown]
	v_sub_f16_e32 v41, v107, v89
	v_sub_f16_e32 v48, v64, v42
	v_add_f16_e32 v41, v41, v48
	v_add_f16_e32 v48, v89, v42
	v_fma_f16 v48, v48, -0.5, v67
	v_sub_f16_e32 v49, v0, v3
	v_fma_f16 v50, v49, s8, v48
	v_sub_f16_e32 v51, v1, v2
	v_fma_f16 v48, v49, s9, v48
	v_fma_f16 v50, v51, s7, v50
	;; [unrolled: 1-line block ×5, first 2 shown]
	v_sub_f16_e32 v48, v89, v107
	v_sub_f16_e32 v52, v42, v64
	v_add_f16_e32 v48, v48, v52
	v_add_f16_e32 v52, v107, v64
	v_fma_f16 v52, v52, -0.5, v67
	v_fma_f16 v53, v51, s9, v52
	v_fma_f16 v51, v51, s8, v52
	;; [unrolled: 1-line block ×6, first 2 shown]
	v_add_f16_e32 v49, v67, v107
	v_add_f16_e32 v49, v49, v89
	;; [unrolled: 1-line block ×3, first 2 shown]
	v_sub_f16_e32 v67, v89, v42
	v_sub_f16_e32 v42, v0, v1
	;; [unrolled: 1-line block ×3, first 2 shown]
	v_add_f16_e32 v86, v42, v52
	v_add_f16_e32 v42, v1, v2
	;; [unrolled: 1-line block ×3, first 2 shown]
	v_fma_f16 v87, v42, -0.5, v106
	v_add_f16_e32 v42, v0, v3
	v_add_f16_e32 v52, v52, v1
	v_fma_f16 v42, v42, -0.5, v106
	v_sub_f16_e32 v0, v1, v0
	v_add_f16_e32 v1, v52, v2
	v_sub_f16_e32 v2, v2, v3
	v_add_f16_e32 v49, v49, v64
	;; [unrolled: 2-line block ×3, first 2 shown]
	v_fma_f16 v2, v67, s8, v42
	v_fma_f16 v2, v64, s14, v2
	v_add_f16_e32 v45, v45, v88
	v_fma_f16 v88, v0, s6, v2
	v_fma_f16 v2, v67, s9, v42
	;; [unrolled: 1-line block ×3, first 2 shown]
	v_add_f16_e32 v1, v1, v3
	v_fma_f16 v0, v0, s6, v2
	v_sub_f16_e32 v2, v91, v95
	v_sub_f16_e32 v3, v101, v99
	v_add_f16_e32 v2, v2, v3
	v_add_f16_e32 v3, v95, v99
	v_fma_f16 v3, v3, -0.5, v66
	v_sub_f16_e32 v42, v82, v7
	v_fma_f16 v52, v42, s8, v3
	v_sub_f16_e32 v53, v79, v81
	v_fma_f16 v3, v42, s9, v3
	v_fma_f16 v52, v53, s7, v52
	;; [unrolled: 1-line block ×5, first 2 shown]
	v_sub_f16_e32 v3, v95, v91
	v_sub_f16_e32 v54, v99, v101
	v_add_f16_e32 v3, v3, v54
	v_add_f16_e32 v54, v91, v101
	v_fma_f16 v54, v54, -0.5, v66
	v_fma_f16 v55, v53, s9, v54
	v_fma_f16 v53, v53, s8, v54
	;; [unrolled: 1-line block ×6, first 2 shown]
	v_sub_f16_e32 v42, v78, v96
	v_sub_f16_e32 v54, v102, v92
	v_add_f16_e32 v42, v42, v54
	v_add_f16_e32 v54, v96, v92
	v_fma_f16 v54, v54, -0.5, v65
	v_sub_f16_e32 v55, v73, v72
	v_fma_f16 v56, v55, s8, v54
	v_sub_f16_e32 v57, v75, v77
	v_fma_f16 v54, v55, s9, v54
	v_fma_f16 v56, v57, s7, v56
	;; [unrolled: 1-line block ×5, first 2 shown]
	v_sub_f16_e32 v54, v96, v78
	v_sub_f16_e32 v58, v92, v102
	v_add_f16_e32 v54, v54, v58
	v_add_f16_e32 v58, v78, v102
	v_fma_f16 v58, v58, -0.5, v65
	v_fma_f16 v59, v57, s9, v58
	v_fma_f16 v57, v57, s8, v58
	v_fma_f16 v58, v55, s7, v59
	v_fma_f16 v55, v55, s14, v57
	v_fma_f16 v57, v54, s6, v58
	v_fma_f16 v54, v54, s6, v55
	v_sub_f16_e32 v55, v97, v104
	v_sub_f16_e32 v58, v71, v93
	v_add_f16_e32 v55, v55, v58
	v_add_f16_e32 v58, v104, v93
	v_fma_f16 v58, v58, -0.5, v61
	v_sub_f16_e32 v59, v70, v74
	v_fma_f16 v89, v59, s8, v58
	v_sub_f16_e32 v100, v76, v63
	v_fma_f16 v58, v59, s9, v58
	v_fma_f16 v89, v100, s7, v89
	v_fma_f16 v58, v100, s14, v58
	v_fma_f16 v89, v55, s6, v89
	v_fma_f16 v55, v55, s6, v58
	v_sub_f16_e32 v58, v104, v97
	v_sub_f16_e32 v106, v93, v71
	v_add_f16_e32 v58, v58, v106
	v_add_f16_e32 v106, v97, v71
	v_fma_f16 v106, v106, -0.5, v61
	ds_write_b16 v26, v6
	ds_write_b16 v26, v39 offset:20
	ds_write_b16 v26, v40 offset:40
	;; [unrolled: 1-line block ×4, first 2 shown]
	ds_write_b16 v33, v45
	ds_write_b16 v33, v46 offset:20
	ds_write_b16 v33, v47 offset:40
	;; [unrolled: 1-line block ×7, first 2 shown]
	v_add_f16_e32 v4, v66, v91
	v_fma_f16 v107, v100, s9, v106
	v_add_f16_e32 v4, v4, v95
	v_fma_f16 v100, v100, s8, v106
	v_fma_f16 v106, v59, s7, v107
	v_add_f16_e32 v4, v4, v99
	v_fma_f16 v59, v59, s14, v100
	v_fma_f16 v100, v58, s6, v106
	v_lshl_add_u32 v106, v25, 1, v37
	v_add_f16_e32 v4, v4, v101
	ds_write_b16 v106, v48
	ds_write_b16 v26, v41 offset:180
	ds_write_b16 v33, v4 offset:100
	;; [unrolled: 1-line block ×6, first 2 shown]
	v_add_f16_e32 v2, v65, v78
	v_add_f16_e32 v2, v2, v96
	;; [unrolled: 1-line block ×4, first 2 shown]
	ds_write_b16 v12, v2 offset:200
	ds_write_b16 v12, v56 offset:220
	;; [unrolled: 1-line block ×5, first 2 shown]
	v_add_f16_e32 v2, v61, v97
	v_add_f16_e32 v2, v2, v104
	;; [unrolled: 1-line block ×3, first 2 shown]
	v_fma_f16 v58, v58, s6, v59
	v_lshl_add_u32 v65, v38, 1, v37
	v_add_f16_e32 v2, v2, v71
	ds_write_b16 v65, v2 offset:200
	ds_write_b16 v65, v89 offset:220
	;; [unrolled: 1-line block ×5, first 2 shown]
	s_waitcnt lgkmcnt(0)
	; wave barrier
	s_waitcnt lgkmcnt(0)
	ds_read_u16 v25, v27
	ds_read_u16 v41, v26 offset:120
	ds_read_u16 v45, v26 offset:130
	;; [unrolled: 1-line block ×4, first 2 shown]
	ds_read_u16 v39, v29
	ds_read_u16 v43, v26 offset:220
	ds_read_u16 v46, v26 offset:230
	;; [unrolled: 1-line block ×4, first 2 shown]
	ds_read_u16 v53, v28
	ds_read_u16 v50, v36
	;; [unrolled: 1-line block ×6, first 2 shown]
	ds_read_u16 v55, v26 offset:160
	ds_read_u16 v58, v26 offset:170
	;; [unrolled: 1-line block ×11, first 2 shown]
	ds_read_u16 v57, v35
	ds_read_u16 v42, v33
	ds_read_u16 v6, v26 offset:290
	s_waitcnt lgkmcnt(0)
	; wave barrier
	s_waitcnt lgkmcnt(0)
	ds_write_b16 v26, v98
	ds_write_b16 v26, v69 offset:20
	ds_write_b16 v26, v90 offset:40
	ds_write_b16 v26, v103 offset:60
	ds_write_b16 v26, v94 offset:80
	ds_write_b16 v33, v84
	ds_write_b16 v33, v68 offset:20
	ds_write_b16 v33, v80 offset:40
	;; [unrolled: 1-line block ×5, first 2 shown]
	v_fma_f16 v1, v64, s9, v87
	v_fma_f16 v1, v67, s14, v1
	;; [unrolled: 1-line block ×3, first 2 shown]
	ds_write_b16 v26, v1 offset:120
	ds_write_b16 v26, v88 offset:140
	ds_write_b16 v106, v0
	v_fma_f16 v0, v64, s8, v87
	v_fma_f16 v0, v67, s7, v0
	v_sub_f16_e32 v66, v82, v79
	v_sub_f16_e32 v67, v7, v81
	v_add_f16_e32 v66, v66, v67
	v_add_f16_e32 v67, v79, v81
	v_sub_f16_e32 v1, v91, v101
	v_fma_f16 v67, v67, -0.5, v105
	v_sub_f16_e32 v64, v95, v99
	v_fma_f16 v68, v1, s9, v67
	v_fma_f16 v67, v1, s8, v67
	v_add_f16_e32 v69, v105, v82
	v_fma_f16 v68, v64, s14, v68
	v_fma_f16 v67, v64, s7, v67
	v_add_f16_e32 v69, v69, v79
	;; [unrolled: 3-line block ×3, first 2 shown]
	v_add_f16_e32 v69, v69, v81
	v_fma_f16 v67, v67, -0.5, v105
	v_sub_f16_e32 v79, v79, v82
	v_add_f16_e32 v69, v69, v7
	v_sub_f16_e32 v7, v81, v7
	v_add_f16_e32 v7, v79, v7
	v_fma_f16 v79, v64, s8, v67
	v_fma_f16 v64, v64, s9, v67
	;; [unrolled: 1-line block ×6, first 2 shown]
	v_sub_f16_e32 v7, v78, v102
	v_sub_f16_e32 v78, v73, v75
	;; [unrolled: 1-line block ×3, first 2 shown]
	v_add_f16_e32 v78, v78, v79
	v_add_f16_e32 v79, v75, v77
	v_fma_f16 v79, v79, -0.5, v62
	v_sub_f16_e32 v67, v96, v92
	v_fma_f16 v80, v7, s9, v79
	v_fma_f16 v79, v7, s8, v79
	;; [unrolled: 1-line block ×6, first 2 shown]
	v_add_f16_e32 v79, v73, v72
	v_fma_f16 v79, v79, -0.5, v62
	v_add_f16_e32 v62, v62, v73
	v_add_f16_e32 v62, v62, v75
	;; [unrolled: 1-line block ×3, first 2 shown]
	v_sub_f16_e32 v73, v75, v73
	v_add_f16_e32 v62, v62, v72
	v_sub_f16_e32 v72, v77, v72
	v_add_f16_e32 v72, v73, v72
	v_fma_f16 v73, v67, s8, v79
	v_fma_f16 v67, v67, s9, v79
	;; [unrolled: 1-line block ×7, first 2 shown]
	ds_write_b16 v26, v0 offset:180
	ds_write_b16 v33, v69 offset:100
	;; [unrolled: 1-line block ×11, first 2 shown]
	v_sub_f16_e32 v7, v70, v76
	v_sub_f16_e32 v12, v74, v63
	v_add_f16_e32 v7, v7, v12
	v_add_f16_e32 v12, v76, v63
	v_sub_f16_e32 v0, v97, v71
	v_fma_f16 v12, v12, -0.5, v60
	v_sub_f16_e32 v1, v104, v93
	v_fma_f16 v62, v0, s9, v12
	v_fma_f16 v12, v0, s8, v12
	;; [unrolled: 1-line block ×6, first 2 shown]
	v_add_f16_e32 v12, v70, v74
	v_fma_f16 v12, v12, -0.5, v60
	v_add_f16_e32 v60, v60, v70
	v_add_f16_e32 v60, v60, v76
	v_sub_f16_e32 v64, v76, v70
	v_add_f16_e32 v60, v60, v63
	v_sub_f16_e32 v63, v63, v74
	v_add_f16_e32 v63, v64, v63
	v_fma_f16 v64, v1, s8, v12
	v_fma_f16 v1, v1, s9, v12
	v_add_f16_e32 v60, v60, v74
	v_fma_f16 v12, v0, s14, v64
	v_fma_f16 v0, v0, s7, v1
	;; [unrolled: 1-line block ×4, first 2 shown]
	ds_write_b16 v65, v60 offset:200
	ds_write_b16 v65, v62 offset:220
	;; [unrolled: 1-line block ×5, first 2 shown]
	s_waitcnt lgkmcnt(0)
	; wave barrier
	s_waitcnt lgkmcnt(0)
	s_and_saveexec_b64 s[6:7], vcc
	s_cbranch_execz .LBB0_14
; %bb.13:
	v_lshlrev_b32_e32 v12, 1, v22
	v_lshlrev_b64 v[0:1], 2, v[12:13]
	v_mov_b32_e32 v68, s13
	v_add_co_u32_e32 v0, vcc, s12, v0
	v_addc_co_u32_e32 v1, vcc, v68, v1, vcc
	v_lshlrev_b32_e32 v12, 1, v24
	global_load_dwordx2 v[62:63], v[0:1], off offset:160
	v_lshlrev_b64 v[0:1], 2, v[12:13]
	v_lshlrev_b32_e32 v12, 1, v23
	v_add_co_u32_e32 v0, vcc, s12, v0
	v_addc_co_u32_e32 v1, vcc, v68, v1, vcc
	global_load_dwordx2 v[64:65], v[0:1], off offset:160
	v_mul_lo_u32 v7, s5, v10
	v_mul_lo_u32 v22, s4, v11
	v_mad_u64_u32 v[0:1], s[4:5], s4, v10, 0
	v_lshlrev_b64 v[10:11], 2, v[12:13]
	v_lshlrev_b32_e32 v12, 1, v18
	v_add_co_u32_e32 v10, vcc, s12, v10
	v_addc_co_u32_e32 v11, vcc, v68, v11, vcc
	global_load_dwordx2 v[66:67], v[10:11], off offset:160
	v_lshlrev_b64 v[10:11], 2, v[12:13]
	ds_read_u16 v69, v26 offset:230
	ds_read_u16 v70, v26 offset:220
	;; [unrolled: 1-line block ×7, first 2 shown]
	ds_read_u16 v35, v35
	ds_read_u16 v73, v33
	ds_read_u16 v74, v26 offset:290
	ds_read_u16 v75, v26 offset:280
	;; [unrolled: 1-line block ×3, first 2 shown]
	ds_read_u16 v77, v36
	ds_read_u16 v78, v34
	;; [unrolled: 1-line block ×6, first 2 shown]
	v_add_co_u32_e32 v10, vcc, s12, v10
	v_addc_co_u32_e32 v11, vcc, v68, v11, vcc
	global_load_dwordx2 v[33:34], v[10:11], off offset:160
	v_add3_u32 v1, v1, v22, v7
	s_movk_i32 s1, 0x3aee
	s_mov_b32 s5, 0xbaee
	s_mov_b32 s4, 0x51eb851f
	v_lshlrev_b64 v[0:1], 2, v[0:1]
	s_waitcnt vmcnt(3) lgkmcnt(13)
	v_mul_f16_sdwa v7, v23, v62 dst_sel:DWORD dst_unused:UNUSED_PAD src0_sel:DWORD src1_sel:WORD_1
	s_waitcnt lgkmcnt(8)
	v_mul_f16_sdwa v10, v74, v63 dst_sel:DWORD dst_unused:UNUSED_PAD src0_sel:DWORD src1_sel:WORD_1
	v_mul_f16_sdwa v11, v5, v62 dst_sel:DWORD dst_unused:UNUSED_PAD src0_sel:DWORD src1_sel:WORD_1
	;; [unrolled: 1-line block ×3, first 2 shown]
	v_fma_f16 v5, v5, v62, -v7
	v_fma_f16 v7, v6, v63, -v10
	v_fma_f16 v6, v62, v23, v11
	v_fma_f16 v10, v63, v74, v12
	s_waitcnt vmcnt(2)
	v_mul_f16_sdwa v11, v24, v64 dst_sel:DWORD dst_unused:UNUSED_PAD src0_sel:DWORD src1_sel:WORD_1
	s_waitcnt lgkmcnt(7)
	v_mul_f16_sdwa v12, v75, v65 dst_sel:DWORD dst_unused:UNUSED_PAD src0_sel:DWORD src1_sel:WORD_1
	v_mul_f16_sdwa v18, v3, v64 dst_sel:DWORD dst_unused:UNUSED_PAD src0_sel:DWORD src1_sel:WORD_1
	v_mul_f16_sdwa v22, v4, v65 dst_sel:DWORD dst_unused:UNUSED_PAD src0_sel:DWORD src1_sel:WORD_1
	v_fma_f16 v74, v3, v64, -v11
	v_fma_f16 v81, v4, v65, -v12
	v_fma_f16 v11, v64, v24, v18
	v_fma_f16 v12, v65, v75, v22
	v_add_f16_e32 v29, v6, v10
	s_waitcnt lgkmcnt(3)
	v_add_f16_e32 v31, v6, v32
	v_add_f16_e32 v36, v5, v7
	;; [unrolled: 1-line block ×3, first 2 shown]
	v_sub_f16_e32 v23, v5, v7
	v_sub_f16_e32 v62, v6, v10
	v_add_f16_e32 v5, v2, v5
	v_fma_f16 v3, v29, -0.5, v32
	v_add_f16_e32 v6, v10, v31
	v_fma_f16 v10, v36, -0.5, v2
	v_sub_f16_e32 v18, v74, v81
	s_waitcnt lgkmcnt(1)
	v_add_f16_e32 v24, v11, v30
	v_fma_f16 v22, v22, -0.5, v30
	v_add_f16_e32 v7, v5, v7
	v_fma_f16 v2, v23, s1, v3
	v_fma_f16 v4, v23, s5, v3
	;; [unrolled: 1-line block ×6, first 2 shown]
	v_add_f16_e32 v22, v12, v24
	v_add_f16_e32 v23, v74, v81
	v_sub_f16_e32 v30, v11, v12
	v_lshlrev_b32_e32 v12, 1, v21
	v_fma_f16 v29, v23, -0.5, v61
	v_lshlrev_b64 v[23:24], 2, v[12:13]
	v_add_f16_e32 v12, v61, v74
	v_add_co_u32_e32 v23, vcc, s12, v23
	v_addc_co_u32_e32 v24, vcc, v68, v24, vcc
	global_load_dwordx2 v[62:63], v[23:24], off offset:160
	s_waitcnt vmcnt(2)
	v_mul_f16_sdwa v24, v58, v66 dst_sel:DWORD dst_unused:UNUSED_PAD src0_sel:DWORD src1_sel:WORD_1
	v_add_f16_e32 v23, v12, v81
	v_mul_f16_sdwa v12, v60, v66 dst_sel:DWORD dst_unused:UNUSED_PAD src0_sel:DWORD src1_sel:WORD_1
	v_fma_f16 v31, v66, v60, v24
	v_mul_f16_sdwa v24, v59, v67 dst_sel:DWORD dst_unused:UNUSED_PAD src0_sel:DWORD src1_sel:WORD_1
	v_fma_f16 v61, v58, v66, -v12
	v_mul_f16_sdwa v12, v76, v67 dst_sel:DWORD dst_unused:UNUSED_PAD src0_sel:DWORD src1_sel:WORD_1
	v_fma_f16 v32, v67, v76, v24
	v_fma_f16 v65, v59, v67, -v12
	v_add_f16_e32 v24, v31, v32
	v_fma_f16 v11, v30, s5, v29
	v_fma_f16 v21, v30, s1, v29
	v_sub_f16_e32 v12, v61, v65
	v_fma_f16 v29, v24, -0.5, v35
	v_fma_f16 v24, v12, s1, v29
	v_fma_f16 v29, v12, s5, v29
	v_add_f16_e32 v12, v31, v35
	v_add_f16_e32 v30, v32, v12
	;; [unrolled: 1-line block ×3, first 2 shown]
	v_fma_f16 v35, v12, -0.5, v57
	v_lshlrev_b32_e32 v12, 1, v19
	v_sub_f16_e32 v60, v31, v32
	v_lshlrev_b64 v[31:32], 2, v[12:13]
	ds_read_u16 v36, v26 offset:160
	ds_read_u16 v64, v26 offset:260
	v_add_co_u32_e32 v31, vcc, s12, v31
	v_addc_co_u32_e32 v32, vcc, v68, v32, vcc
	global_load_dwordx2 v[58:59], v[31:32], off offset:160
	v_add_f16_e32 v12, v57, v61
	v_add_f16_e32 v32, v12, v65
	s_waitcnt vmcnt(2) lgkmcnt(1)
	v_mul_f16_sdwa v12, v36, v33 dst_sel:DWORD dst_unused:UNUSED_PAD src0_sel:DWORD src1_sel:WORD_1
	v_fma_f16 v19, v60, s5, v35
	v_fma_f16 v31, v60, s1, v35
	v_fma_f16 v60, v55, v33, -v12
	s_waitcnt lgkmcnt(0)
	v_mul_f16_sdwa v12, v64, v34 dst_sel:DWORD dst_unused:UNUSED_PAD src0_sel:DWORD src1_sel:WORD_1
	v_fma_f16 v61, v56, v34, -v12
	v_mul_f16_sdwa v12, v55, v33 dst_sel:DWORD dst_unused:UNUSED_PAD src0_sel:DWORD src1_sel:WORD_1
	ds_read_u16 v57, v26 offset:110
	ds_read_u16 v65, v26 offset:120
	ds_read_u16 v66, v26 offset:130
	ds_read_u16 v67, v26 offset:140
	ds_read_u16 v74, v26 offset:150
	ds_read_u16 v75, v26 offset:250
	ds_read_u16 v76, v26 offset:100
	ds_read_u16 v28, v28
	v_fma_f16 v36, v33, v36, v12
	v_mul_f16_sdwa v12, v56, v34 dst_sel:DWORD dst_unused:UNUSED_PAD src0_sel:DWORD src1_sel:WORD_1
	v_fma_f16 v64, v34, v64, v12
	v_lshlrev_b32_e32 v12, 1, v15
	v_lshlrev_b64 v[33:34], 2, v[12:13]
	v_add_f16_e32 v81, v36, v64
	v_add_co_u32_e32 v33, vcc, s12, v33
	v_sub_f16_e32 v35, v60, v61
	v_addc_co_u32_e32 v34, vcc, v68, v34, vcc
	s_waitcnt lgkmcnt(0)
	v_fma_f16 v12, v81, -0.5, v28
	global_load_dwordx2 v[55:56], v[33:34], off offset:160
	ds_read_u16 v82, v27
	ds_read_u16 v26, v26 offset:240
	v_fma_f16 v27, v35, s1, v12
	v_fma_f16 v33, v35, s5, v12
	v_add_f16_e32 v12, v36, v28
	v_add_f16_e32 v35, v64, v12
	;; [unrolled: 1-line block ×3, first 2 shown]
	v_fma_f16 v12, v12, -0.5, v53
	v_sub_f16_e32 v15, v36, v64
	v_fma_f16 v28, v15, s5, v12
	v_fma_f16 v34, v15, s1, v12
	v_add_f16_e32 v12, v53, v60
	v_add_f16_e32 v36, v12, v61
	v_lshlrev_b32_e32 v12, 1, v20
	v_lshlrev_b64 v[60:61], 2, v[12:13]
	v_pack_b32_f16 v18, v21, v18
	v_add_co_u32_e32 v60, vcc, s12, v60
	v_addc_co_u32_e32 v61, vcc, v68, v61, vcc
	global_load_dwordx2 v[60:61], v[60:61], off offset:160
	v_pack_b32_f16 v4, v5, v4
	v_pack_b32_f16 v2, v3, v2
	s_waitcnt vmcnt(3)
	v_mul_f16_sdwa v12, v74, v62 dst_sel:DWORD dst_unused:UNUSED_PAD src0_sel:DWORD src1_sel:WORD_1
	v_mul_f16_sdwa v20, v51, v62 dst_sel:DWORD dst_unused:UNUSED_PAD src0_sel:DWORD src1_sel:WORD_1
	v_fma_f16 v15, v51, v62, -v12
	v_fma_f16 v51, v62, v74, v20
	v_mul_f16_sdwa v20, v54, v63 dst_sel:DWORD dst_unused:UNUSED_PAD src0_sel:DWORD src1_sel:WORD_1
	v_mul_f16_sdwa v12, v75, v63 dst_sel:DWORD dst_unused:UNUSED_PAD src0_sel:DWORD src1_sel:WORD_1
	v_fma_f16 v62, v63, v75, v20
	v_fma_f16 v64, v54, v63, -v12
	v_add_f16_e32 v20, v51, v62
	v_sub_f16_e32 v12, v15, v64
	v_fma_f16 v53, v20, -0.5, v77
	v_fma_f16 v20, v12, s1, v53
	v_fma_f16 v63, v12, s5, v53
	v_add_f16_e32 v12, v51, v77
	v_add_f16_e32 v74, v62, v12
	v_lshlrev_b32_e32 v12, 1, v17
	v_add_f16_e32 v75, v15, v64
	v_lshlrev_b64 v[53:54], 2, v[12:13]
	v_fma_f16 v12, v75, -0.5, v50
	v_sub_f16_e32 v17, v51, v62
	v_add_co_u32_e32 v53, vcc, s12, v53
	v_fma_f16 v51, v17, s5, v12
	v_fma_f16 v17, v17, s1, v12
	v_add_f16_e32 v12, v50, v15
	v_addc_co_u32_e32 v54, vcc, v68, v54, vcc
	global_load_dwordx2 v[53:54], v[53:54], off offset:160
	v_add_f16_e32 v50, v12, v64
	v_mov_b32_e32 v15, v13
	s_waitcnt vmcnt(3)
	v_mul_f16_sdwa v12, v67, v58 dst_sel:DWORD dst_unused:UNUSED_PAD src0_sel:DWORD src1_sel:WORD_1
	v_fma_f16 v62, v48, v58, -v12
	s_waitcnt lgkmcnt(0)
	v_mul_f16_sdwa v12, v26, v59 dst_sel:DWORD dst_unused:UNUSED_PAD src0_sel:DWORD src1_sel:WORD_1
	v_fma_f16 v64, v52, v59, -v12
	v_mul_f16_sdwa v12, v48, v58 dst_sel:DWORD dst_unused:UNUSED_PAD src0_sel:DWORD src1_sel:WORD_1
	v_fma_f16 v48, v58, v67, v12
	v_mul_f16_sdwa v12, v52, v59 dst_sel:DWORD dst_unused:UNUSED_PAD src0_sel:DWORD src1_sel:WORD_1
	v_fma_f16 v26, v59, v26, v12
	v_lshlrev_b64 v[12:13], 2, v[14:15]
	v_add_f16_e32 v14, v48, v26
	v_add_co_u32_e32 v12, vcc, s12, v12
	v_addc_co_u32_e32 v13, vcc, v68, v13, vcc
	global_load_dwordx2 v[12:13], v[12:13], off offset:160
	v_sub_f16_e32 v75, v62, v64
	v_fma_f16 v14, v14, -0.5, v78
	v_fma_f16 v52, v75, s1, v14
	v_fma_f16 v58, v75, s5, v14
	v_add_f16_e32 v14, v48, v78
	v_add_f16_e32 v59, v26, v14
	;; [unrolled: 1-line block ×3, first 2 shown]
	v_fma_f16 v14, v14, -0.5, v49
	v_sub_f16_e32 v15, v48, v26
	v_fma_f16 v48, v15, s5, v14
	v_fma_f16 v67, v15, s1, v14
	v_add_f16_e32 v14, v49, v62
	v_add_f16_e32 v49, v14, v64
	s_waitcnt vmcnt(3)
	v_mul_f16_sdwa v14, v66, v55 dst_sel:DWORD dst_unused:UNUSED_PAD src0_sel:DWORD src1_sel:WORD_1
	v_mul_f16_sdwa v15, v69, v56 dst_sel:DWORD dst_unused:UNUSED_PAD src0_sel:DWORD src1_sel:WORD_1
	v_fma_f16 v14, v45, v55, -v14
	v_fma_f16 v15, v46, v56, -v15
	v_mul_f16_sdwa v45, v45, v55 dst_sel:DWORD dst_unused:UNUSED_PAD src0_sel:DWORD src1_sel:WORD_1
	v_mul_f16_sdwa v46, v46, v56 dst_sel:DWORD dst_unused:UNUSED_PAD src0_sel:DWORD src1_sel:WORD_1
	v_fma_f16 v45, v55, v66, v45
	v_fma_f16 v46, v56, v69, v46
	v_add_f16_e32 v55, v45, v46
	v_sub_f16_e32 v26, v14, v15
	v_fma_f16 v55, v55, -0.5, v79
	v_fma_f16 v56, v26, s1, v55
	v_fma_f16 v55, v26, s5, v55
	v_add_f16_e32 v26, v45, v79
	v_add_f16_e32 v62, v46, v26
	;; [unrolled: 1-line block ×4, first 2 shown]
	v_fma_f16 v26, v26, -0.5, v47
	v_add_f16_e32 v47, v14, v15
	s_waitcnt vmcnt(2)
	v_mul_f16_sdwa v14, v65, v60 dst_sel:DWORD dst_unused:UNUSED_PAD src0_sel:DWORD src1_sel:WORD_1
	v_mul_f16_sdwa v15, v70, v61 dst_sel:DWORD dst_unused:UNUSED_PAD src0_sel:DWORD src1_sel:WORD_1
	v_fma_f16 v14, v41, v60, -v14
	v_fma_f16 v15, v43, v61, -v15
	v_mul_f16_sdwa v41, v41, v60 dst_sel:DWORD dst_unused:UNUSED_PAD src0_sel:DWORD src1_sel:WORD_1
	v_mul_f16_sdwa v43, v43, v61 dst_sel:DWORD dst_unused:UNUSED_PAD src0_sel:DWORD src1_sel:WORD_1
	v_fma_f16 v41, v60, v65, v41
	v_fma_f16 v43, v61, v70, v43
	v_sub_f16_e32 v45, v45, v46
	v_add_f16_e32 v60, v41, v43
	v_fma_f16 v46, v45, s5, v26
	v_fma_f16 v45, v45, s1, v26
	v_sub_f16_e32 v26, v14, v15
	v_fma_f16 v60, v60, -0.5, v80
	v_fma_f16 v61, v26, s1, v60
	v_fma_f16 v60, v26, s5, v60
	v_add_f16_e32 v26, v41, v80
	v_add_f16_e32 v64, v43, v26
	;; [unrolled: 1-line block ×4, first 2 shown]
	v_fma_f16 v26, v26, -0.5, v39
	v_add_f16_e32 v39, v14, v15
	v_sub_f16_e32 v41, v41, v43
	v_fma_f16 v43, v41, s5, v26
	v_fma_f16 v41, v41, s1, v26
	s_waitcnt vmcnt(1)
	v_mul_f16_sdwa v14, v57, v53 dst_sel:DWORD dst_unused:UNUSED_PAD src0_sel:DWORD src1_sel:WORD_1
	v_mul_f16_sdwa v15, v71, v54 dst_sel:DWORD dst_unused:UNUSED_PAD src0_sel:DWORD src1_sel:WORD_1
	v_fma_f16 v14, v38, v53, -v14
	v_fma_f16 v15, v44, v54, -v15
	v_mul_f16_sdwa v38, v38, v53 dst_sel:DWORD dst_unused:UNUSED_PAD src0_sel:DWORD src1_sel:WORD_1
	v_mul_f16_sdwa v44, v44, v54 dst_sel:DWORD dst_unused:UNUSED_PAD src0_sel:DWORD src1_sel:WORD_1
	v_fma_f16 v38, v53, v57, v38
	v_fma_f16 v44, v54, v71, v44
	v_add_f16_e32 v53, v38, v44
	v_sub_f16_e32 v26, v14, v15
	v_fma_f16 v53, v53, -0.5, v73
	v_fma_f16 v54, v26, s1, v53
	v_fma_f16 v53, v26, s5, v53
	v_add_f16_e32 v26, v38, v73
	v_add_f16_e32 v57, v44, v26
	;; [unrolled: 1-line block ×4, first 2 shown]
	v_fma_f16 v26, v26, -0.5, v42
	v_add_f16_e32 v42, v14, v15
	s_waitcnt vmcnt(0)
	v_mul_f16_sdwa v14, v76, v12 dst_sel:DWORD dst_unused:UNUSED_PAD src0_sel:DWORD src1_sel:WORD_1
	v_fma_f16 v15, v37, v12, -v14
	v_mul_f16_sdwa v37, v37, v12 dst_sel:DWORD dst_unused:UNUSED_PAD src0_sel:DWORD src1_sel:WORD_1
	v_sub_f16_e32 v38, v38, v44
	v_mul_f16_sdwa v14, v72, v13 dst_sel:DWORD dst_unused:UNUSED_PAD src0_sel:DWORD src1_sel:WORD_1
	v_fma_f16 v37, v12, v76, v37
	v_mul_f16_sdwa v12, v40, v13 dst_sel:DWORD dst_unused:UNUSED_PAD src0_sel:DWORD src1_sel:WORD_1
	v_fma_f16 v44, v38, s5, v26
	v_fma_f16 v65, v38, s1, v26
	v_fma_f16 v26, v40, v13, -v14
	v_fma_f16 v38, v13, v72, v12
	v_mul_hi_u32 v13, v16, s4
	v_add_f16_e32 v12, v37, v38
	v_sub_f16_e32 v14, v15, v26
	v_fma_f16 v12, v12, -0.5, v82
	v_fma_f16 v40, v14, s1, v12
	v_fma_f16 v66, v14, s5, v12
	v_lshrrev_b32_e32 v12, 4, v13
	v_mul_lo_u32 v12, v12, 50
	v_add_f16_e32 v13, v37, v82
	v_add_f16_e32 v68, v38, v13
	;; [unrolled: 1-line block ×3, first 2 shown]
	v_sub_u32_e32 v69, v16, v12
	v_mad_u64_u32 v[12:13], s[6:7], s2, v69, 0
	v_fma_f16 v70, v14, -0.5, v25
	v_sub_f16_e32 v37, v37, v38
	v_mad_u64_u32 v[13:14], s[6:7], s3, v69, v[13:14]
	v_add_f16_e32 v14, v25, v15
	v_add_f16_e32 v25, v14, v26
	v_mov_b32_e32 v14, s11
	v_add_co_u32_e32 v15, vcc, s10, v0
	v_add_u32_e32 v26, 50, v69
	v_addc_co_u32_e32 v14, vcc, v14, v1, vcc
	v_lshlrev_b64 v[0:1], 2, v[8:9]
	v_mad_u64_u32 v[8:9], s[6:7], s2, v26, 0
	v_add_co_u32_e32 v0, vcc, v15, v0
	v_addc_co_u32_e32 v1, vcc, v14, v1, vcc
	v_lshlrev_b64 v[12:13], 2, v[12:13]
	v_mad_u64_u32 v[14:15], s[6:7], s3, v26, v[9:10]
	v_add_co_u32_e32 v12, vcc, v0, v12
	v_addc_co_u32_e32 v13, vcc, v1, v13, vcc
	v_pack_b32_f16 v9, v25, v68
	global_store_dword v[12:13], v9, off
	v_mov_b32_e32 v9, v14
	v_add_u32_e32 v25, 5, v16
	v_lshlrev_b64 v[8:9], 2, v[8:9]
	v_mul_hi_u32 v26, v25, s4
	v_fma_f16 v38, v37, s5, v70
	v_fma_f16 v37, v37, s1, v70
	v_add_co_u32_e32 v8, vcc, v0, v8
	v_add_u32_e32 v15, 0x64, v69
	v_addc_co_u32_e32 v9, vcc, v1, v9, vcc
	v_pack_b32_f16 v14, v37, v66
	v_mad_u64_u32 v[12:13], s[6:7], s2, v15, 0
	global_store_dword v[8:9], v14, off
	v_lshrrev_b32_e32 v14, 4, v26
	v_mul_lo_u32 v26, v14, 50
	v_mov_b32_e32 v8, v13
	v_mad_u64_u32 v[8:9], s[6:7], s3, v15, v[8:9]
	v_sub_u32_e32 v9, v25, v26
	v_mad_u64_u32 v[14:15], s[6:7], v14, s0, v[9:10]
	v_mov_b32_e32 v13, v8
	v_lshlrev_b64 v[8:9], 2, v[12:13]
	v_mad_u64_u32 v[12:13], s[6:7], s2, v14, 0
	v_pack_b32_f16 v15, v38, v40
	v_add_co_u32_e32 v8, vcc, v0, v8
	v_mad_u64_u32 v[25:26], s[6:7], s3, v14, v[13:14]
	v_add_u32_e32 v26, 50, v14
	v_mad_u64_u32 v[37:38], s[6:7], s2, v26, 0
	v_addc_co_u32_e32 v9, vcc, v1, v9, vcc
	v_mov_b32_e32 v13, v25
	global_store_dword v[8:9], v15, off
	v_lshlrev_b64 v[8:9], 2, v[12:13]
	v_mov_b32_e32 v12, v38
	v_mad_u64_u32 v[12:13], s[6:7], s3, v26, v[12:13]
	v_add_co_u32_e32 v8, vcc, v0, v8
	v_addc_co_u32_e32 v9, vcc, v1, v9, vcc
	v_pack_b32_f16 v13, v42, v57
	v_mov_b32_e32 v38, v12
	v_add_u32_e32 v25, 10, v16
	global_store_dword v[8:9], v13, off
	v_lshlrev_b64 v[8:9], 2, v[37:38]
	v_mul_hi_u32 v26, v25, s4
	v_add_co_u32_e32 v8, vcc, v0, v8
	v_add_u32_e32 v14, 0x64, v14
	v_addc_co_u32_e32 v9, vcc, v1, v9, vcc
	v_pack_b32_f16 v15, v65, v53
	v_mad_u64_u32 v[12:13], s[6:7], s2, v14, 0
	global_store_dword v[8:9], v15, off
	v_lshrrev_b32_e32 v15, 4, v26
	v_mul_lo_u32 v26, v15, 50
	v_mov_b32_e32 v8, v13
	v_mad_u64_u32 v[8:9], s[6:7], s3, v14, v[8:9]
	v_sub_u32_e32 v9, v25, v26
	v_mad_u64_u32 v[14:15], s[6:7], v15, s0, v[9:10]
	v_mov_b32_e32 v13, v8
	v_lshlrev_b64 v[8:9], 2, v[12:13]
	v_mad_u64_u32 v[12:13], s[6:7], s2, v14, 0
	v_add_co_u32_e32 v8, vcc, v0, v8
	v_mad_u64_u32 v[25:26], s[6:7], s3, v14, v[13:14]
	v_add_u32_e32 v26, 50, v14
	v_mad_u64_u32 v[37:38], s[6:7], s2, v26, 0
	v_addc_co_u32_e32 v9, vcc, v1, v9, vcc
	v_pack_b32_f16 v15, v44, v54
	v_mov_b32_e32 v13, v25
	global_store_dword v[8:9], v15, off
	v_lshlrev_b64 v[8:9], 2, v[12:13]
	v_mov_b32_e32 v12, v38
	v_mad_u64_u32 v[12:13], s[6:7], s3, v26, v[12:13]
	v_add_co_u32_e32 v8, vcc, v0, v8
	v_addc_co_u32_e32 v9, vcc, v1, v9, vcc
	v_pack_b32_f16 v13, v39, v64
	v_mov_b32_e32 v38, v12
	v_add_u32_e32 v25, 15, v16
	global_store_dword v[8:9], v13, off
	v_lshlrev_b64 v[8:9], 2, v[37:38]
	v_mul_hi_u32 v26, v25, s4
	v_add_co_u32_e32 v8, vcc, v0, v8
	v_add_u32_e32 v14, 0x64, v14
	v_addc_co_u32_e32 v9, vcc, v1, v9, vcc
	v_pack_b32_f16 v15, v41, v60
	v_mad_u64_u32 v[12:13], s[6:7], s2, v14, 0
	global_store_dword v[8:9], v15, off
	v_lshrrev_b32_e32 v15, 4, v26
	v_mul_lo_u32 v26, v15, 50
	v_mov_b32_e32 v8, v13
	v_mad_u64_u32 v[8:9], s[6:7], s3, v14, v[8:9]
	v_sub_u32_e32 v9, v25, v26
	v_mad_u64_u32 v[14:15], s[6:7], v15, s0, v[9:10]
	v_mov_b32_e32 v13, v8
	v_lshlrev_b64 v[8:9], 2, v[12:13]
	v_mad_u64_u32 v[12:13], s[6:7], s2, v14, 0
	v_add_co_u32_e32 v8, vcc, v0, v8
	v_mad_u64_u32 v[25:26], s[6:7], s3, v14, v[13:14]
	v_add_u32_e32 v26, 50, v14
	v_mad_u64_u32 v[37:38], s[6:7], s2, v26, 0
	v_addc_co_u32_e32 v9, vcc, v1, v9, vcc
	v_pack_b32_f16 v15, v43, v61
	;; [unrolled: 34-line block ×4, first 2 shown]
	v_mov_b32_e32 v13, v25
	global_store_dword v[8:9], v15, off
	v_lshlrev_b64 v[8:9], 2, v[12:13]
	v_mov_b32_e32 v12, v38
	v_mad_u64_u32 v[12:13], s[6:7], s3, v26, v[12:13]
	v_add_co_u32_e32 v8, vcc, v0, v8
	v_addc_co_u32_e32 v9, vcc, v1, v9, vcc
	v_pack_b32_f16 v13, v50, v74
	v_mov_b32_e32 v38, v12
	v_pack_b32_f16 v15, v17, v63
	v_add_u32_e32 v17, 30, v16
	global_store_dword v[8:9], v13, off
	v_lshlrev_b64 v[8:9], 2, v[37:38]
	v_mul_hi_u32 v25, v17, s4
	v_add_co_u32_e32 v8, vcc, v0, v8
	v_add_u32_e32 v14, 0x64, v14
	v_addc_co_u32_e32 v9, vcc, v1, v9, vcc
	v_mad_u64_u32 v[12:13], s[6:7], s2, v14, 0
	global_store_dword v[8:9], v15, off
	v_lshrrev_b32_e32 v15, 4, v25
	v_mul_lo_u32 v25, v15, 50
	v_mov_b32_e32 v8, v13
	v_mad_u64_u32 v[8:9], s[6:7], s3, v14, v[8:9]
	v_sub_u32_e32 v9, v17, v25
	v_mad_u64_u32 v[14:15], s[6:7], v15, s0, v[9:10]
	v_mov_b32_e32 v13, v8
	v_lshlrev_b64 v[8:9], 2, v[12:13]
	v_mad_u64_u32 v[12:13], s[6:7], s2, v14, 0
	v_add_u32_e32 v17, 50, v14
	v_mad_u64_u32 v[37:38], s[6:7], s2, v17, 0
	v_mad_u64_u32 v[25:26], s[6:7], s3, v14, v[13:14]
	v_add_co_u32_e32 v8, vcc, v0, v8
	v_addc_co_u32_e32 v9, vcc, v1, v9, vcc
	v_pack_b32_f16 v15, v51, v20
	v_mov_b32_e32 v13, v25
	global_store_dword v[8:9], v15, off
	v_lshlrev_b64 v[8:9], 2, v[12:13]
	v_mov_b32_e32 v12, v38
	v_mad_u64_u32 v[12:13], s[6:7], s3, v17, v[12:13]
	v_add_co_u32_e32 v8, vcc, v0, v8
	v_addc_co_u32_e32 v9, vcc, v1, v9, vcc
	v_pack_b32_f16 v13, v36, v35
	v_mov_b32_e32 v38, v12
	v_add_u32_e32 v17, 35, v16
	global_store_dword v[8:9], v13, off
	v_lshlrev_b64 v[8:9], 2, v[37:38]
	v_mul_hi_u32 v20, v17, s4
	v_add_co_u32_e32 v8, vcc, v0, v8
	v_add_u32_e32 v14, 0x64, v14
	v_addc_co_u32_e32 v9, vcc, v1, v9, vcc
	v_pack_b32_f16 v15, v34, v33
	v_mad_u64_u32 v[12:13], s[6:7], s2, v14, 0
	global_store_dword v[8:9], v15, off
	v_lshrrev_b32_e32 v15, 4, v20
	v_mul_lo_u32 v20, v15, 50
	v_mov_b32_e32 v8, v13
	v_mad_u64_u32 v[8:9], s[6:7], s3, v14, v[8:9]
	v_sub_u32_e32 v9, v17, v20
	v_mad_u64_u32 v[14:15], s[6:7], v15, s0, v[9:10]
	v_mov_b32_e32 v13, v8
	v_lshlrev_b64 v[8:9], 2, v[12:13]
	v_mad_u64_u32 v[12:13], s[6:7], s2, v14, 0
	v_add_u32_e32 v17, 50, v14
	v_pack_b32_f16 v15, v28, v27
	v_mad_u64_u32 v[25:26], s[6:7], s3, v14, v[13:14]
	v_mad_u64_u32 v[26:27], s[6:7], s2, v17, 0
	v_add_co_u32_e32 v8, vcc, v0, v8
	v_addc_co_u32_e32 v9, vcc, v1, v9, vcc
	v_mov_b32_e32 v13, v25
	global_store_dword v[8:9], v15, off
	v_lshlrev_b64 v[8:9], 2, v[12:13]
	v_mov_b32_e32 v12, v27
	v_mad_u64_u32 v[12:13], s[6:7], s3, v17, v[12:13]
	v_add_co_u32_e32 v8, vcc, v0, v8
	v_addc_co_u32_e32 v9, vcc, v1, v9, vcc
	v_pack_b32_f16 v13, v32, v30
	v_mov_b32_e32 v27, v12
	v_add_u32_e32 v17, 40, v16
	global_store_dword v[8:9], v13, off
	v_lshlrev_b64 v[8:9], 2, v[26:27]
	v_mul_hi_u32 v20, v17, s4
	v_add_co_u32_e32 v8, vcc, v0, v8
	v_add_u32_e32 v14, 0x64, v14
	v_addc_co_u32_e32 v9, vcc, v1, v9, vcc
	v_pack_b32_f16 v15, v31, v29
	v_mad_u64_u32 v[12:13], s[6:7], s2, v14, 0
	global_store_dword v[8:9], v15, off
	v_lshrrev_b32_e32 v15, 4, v20
	v_mul_lo_u32 v20, v15, 50
	v_mov_b32_e32 v8, v13
	v_mad_u64_u32 v[8:9], s[6:7], s3, v14, v[8:9]
	v_sub_u32_e32 v9, v17, v20
	v_mad_u64_u32 v[14:15], s[6:7], v15, s0, v[9:10]
	v_mov_b32_e32 v13, v8
	v_lshlrev_b64 v[8:9], 2, v[12:13]
	v_mad_u64_u32 v[12:13], s[6:7], s2, v14, 0
	v_add_co_u32_e32 v8, vcc, v0, v8
	v_addc_co_u32_e32 v9, vcc, v1, v9, vcc
	v_pack_b32_f16 v15, v19, v24
	v_mad_u64_u32 v[19:20], s[6:7], s3, v14, v[13:14]
	v_add_u32_e32 v17, 50, v14
	global_store_dword v[8:9], v15, off
	v_add_u32_e32 v15, 45, v16
	v_mad_u64_u32 v[24:25], s[6:7], s2, v17, 0
	v_mul_hi_u32 v16, v15, s4
	v_mov_b32_e32 v13, v19
	v_lshlrev_b64 v[8:9], 2, v[12:13]
	v_mov_b32_e32 v12, v25
	v_lshrrev_b32_e32 v16, 4, v16
	v_mad_u64_u32 v[12:13], s[6:7], s3, v17, v[12:13]
	v_add_u32_e32 v17, 0x64, v14
	v_mul_lo_u32 v14, v16, 50
	v_add_co_u32_e32 v8, vcc, v0, v8
	v_addc_co_u32_e32 v9, vcc, v1, v9, vcc
	v_pack_b32_f16 v13, v23, v22
	v_sub_u32_e32 v14, v15, v14
	global_store_dword v[8:9], v13, off
	v_mov_b32_e32 v25, v12
	v_mad_u64_u32 v[12:13], s[4:5], s2, v17, 0
	v_mad_u64_u32 v[14:15], s[0:1], v16, s0, v[14:15]
	v_lshlrev_b64 v[8:9], 2, v[24:25]
	v_pack_b32_f16 v10, v11, v10
	v_mad_u64_u32 v[15:16], s[0:1], s3, v17, v[13:14]
	v_mad_u64_u32 v[16:17], s[0:1], s2, v14, 0
	v_add_co_u32_e32 v8, vcc, v0, v8
	v_addc_co_u32_e32 v9, vcc, v1, v9, vcc
	v_mov_b32_e32 v13, v15
	global_store_dword v[8:9], v18, off
	v_lshlrev_b64 v[8:9], 2, v[12:13]
	v_mov_b32_e32 v12, v17
	v_mad_u64_u32 v[12:13], s[0:1], s3, v14, v[12:13]
	v_add_co_u32_e32 v8, vcc, v0, v8
	v_addc_co_u32_e32 v9, vcc, v1, v9, vcc
	v_mov_b32_e32 v17, v12
	v_add_u32_e32 v12, 50, v14
	global_store_dword v[8:9], v10, off
	v_mad_u64_u32 v[10:11], s[0:1], s2, v12, 0
	v_pack_b32_f16 v15, v7, v6
	v_add_u32_e32 v14, 0x64, v14
	v_mov_b32_e32 v6, v11
	v_lshlrev_b64 v[8:9], 2, v[16:17]
	v_mad_u64_u32 v[6:7], s[0:1], s3, v12, v[6:7]
	v_mad_u64_u32 v[12:13], s[0:1], s2, v14, 0
	v_add_co_u32_e32 v8, vcc, v0, v8
	v_addc_co_u32_e32 v9, vcc, v1, v9, vcc
	global_store_dword v[8:9], v15, off
	v_mov_b32_e32 v8, v13
	v_mov_b32_e32 v11, v6
	v_mad_u64_u32 v[8:9], s[0:1], s3, v14, v[8:9]
	v_lshlrev_b64 v[6:7], 2, v[10:11]
	v_add_co_u32_e32 v6, vcc, v0, v6
	v_addc_co_u32_e32 v7, vcc, v1, v7, vcc
	v_mov_b32_e32 v13, v8
	global_store_dword v[6:7], v4, off
	v_lshlrev_b64 v[4:5], 2, v[12:13]
	v_add_co_u32_e32 v0, vcc, v0, v4
	v_addc_co_u32_e32 v1, vcc, v1, v5, vcc
	global_store_dword v[0:1], v2, off
.LBB0_14:
	s_endpgm
	.section	.rodata,"a",@progbits
	.p2align	6, 0x0
	.amdhsa_kernel fft_rtc_fwd_len150_factors_10_5_3_wgs_60_tpt_5_halfLds_half_op_CI_CI_sbrr_dirReg
		.amdhsa_group_segment_fixed_size 0
		.amdhsa_private_segment_fixed_size 0
		.amdhsa_kernarg_size 104
		.amdhsa_user_sgpr_count 6
		.amdhsa_user_sgpr_private_segment_buffer 1
		.amdhsa_user_sgpr_dispatch_ptr 0
		.amdhsa_user_sgpr_queue_ptr 0
		.amdhsa_user_sgpr_kernarg_segment_ptr 1
		.amdhsa_user_sgpr_dispatch_id 0
		.amdhsa_user_sgpr_flat_scratch_init 0
		.amdhsa_user_sgpr_private_segment_size 0
		.amdhsa_uses_dynamic_stack 0
		.amdhsa_system_sgpr_private_segment_wavefront_offset 0
		.amdhsa_system_sgpr_workgroup_id_x 1
		.amdhsa_system_sgpr_workgroup_id_y 0
		.amdhsa_system_sgpr_workgroup_id_z 0
		.amdhsa_system_sgpr_workgroup_info 0
		.amdhsa_system_vgpr_workitem_id 0
		.amdhsa_next_free_vgpr 119
		.amdhsa_next_free_sgpr 32
		.amdhsa_reserve_vcc 1
		.amdhsa_reserve_flat_scratch 0
		.amdhsa_float_round_mode_32 0
		.amdhsa_float_round_mode_16_64 0
		.amdhsa_float_denorm_mode_32 3
		.amdhsa_float_denorm_mode_16_64 3
		.amdhsa_dx10_clamp 1
		.amdhsa_ieee_mode 1
		.amdhsa_fp16_overflow 0
		.amdhsa_exception_fp_ieee_invalid_op 0
		.amdhsa_exception_fp_denorm_src 0
		.amdhsa_exception_fp_ieee_div_zero 0
		.amdhsa_exception_fp_ieee_overflow 0
		.amdhsa_exception_fp_ieee_underflow 0
		.amdhsa_exception_fp_ieee_inexact 0
		.amdhsa_exception_int_div_zero 0
	.end_amdhsa_kernel
	.text
.Lfunc_end0:
	.size	fft_rtc_fwd_len150_factors_10_5_3_wgs_60_tpt_5_halfLds_half_op_CI_CI_sbrr_dirReg, .Lfunc_end0-fft_rtc_fwd_len150_factors_10_5_3_wgs_60_tpt_5_halfLds_half_op_CI_CI_sbrr_dirReg
                                        ; -- End function
	.section	.AMDGPU.csdata,"",@progbits
; Kernel info:
; codeLenInByte = 15156
; NumSgprs: 36
; NumVgprs: 119
; ScratchSize: 0
; MemoryBound: 0
; FloatMode: 240
; IeeeMode: 1
; LDSByteSize: 0 bytes/workgroup (compile time only)
; SGPRBlocks: 4
; VGPRBlocks: 29
; NumSGPRsForWavesPerEU: 36
; NumVGPRsForWavesPerEU: 119
; Occupancy: 2
; WaveLimiterHint : 1
; COMPUTE_PGM_RSRC2:SCRATCH_EN: 0
; COMPUTE_PGM_RSRC2:USER_SGPR: 6
; COMPUTE_PGM_RSRC2:TRAP_HANDLER: 0
; COMPUTE_PGM_RSRC2:TGID_X_EN: 1
; COMPUTE_PGM_RSRC2:TGID_Y_EN: 0
; COMPUTE_PGM_RSRC2:TGID_Z_EN: 0
; COMPUTE_PGM_RSRC2:TIDIG_COMP_CNT: 0
	.type	__hip_cuid_84974f3ac457a159,@object ; @__hip_cuid_84974f3ac457a159
	.section	.bss,"aw",@nobits
	.globl	__hip_cuid_84974f3ac457a159
__hip_cuid_84974f3ac457a159:
	.byte	0                               ; 0x0
	.size	__hip_cuid_84974f3ac457a159, 1

	.ident	"AMD clang version 19.0.0git (https://github.com/RadeonOpenCompute/llvm-project roc-6.4.0 25133 c7fe45cf4b819c5991fe208aaa96edf142730f1d)"
	.section	".note.GNU-stack","",@progbits
	.addrsig
	.addrsig_sym __hip_cuid_84974f3ac457a159
	.amdgpu_metadata
---
amdhsa.kernels:
  - .args:
      - .actual_access:  read_only
        .address_space:  global
        .offset:         0
        .size:           8
        .value_kind:     global_buffer
      - .offset:         8
        .size:           8
        .value_kind:     by_value
      - .actual_access:  read_only
        .address_space:  global
        .offset:         16
        .size:           8
        .value_kind:     global_buffer
      - .actual_access:  read_only
        .address_space:  global
        .offset:         24
        .size:           8
        .value_kind:     global_buffer
      - .actual_access:  read_only
        .address_space:  global
        .offset:         32
        .size:           8
        .value_kind:     global_buffer
      - .offset:         40
        .size:           8
        .value_kind:     by_value
      - .actual_access:  read_only
        .address_space:  global
        .offset:         48
        .size:           8
        .value_kind:     global_buffer
      - .actual_access:  read_only
        .address_space:  global
        .offset:         56
        .size:           8
        .value_kind:     global_buffer
      - .offset:         64
        .size:           4
        .value_kind:     by_value
      - .actual_access:  read_only
        .address_space:  global
        .offset:         72
        .size:           8
        .value_kind:     global_buffer
      - .actual_access:  read_only
        .address_space:  global
        .offset:         80
        .size:           8
        .value_kind:     global_buffer
      - .actual_access:  read_only
        .address_space:  global
        .offset:         88
        .size:           8
        .value_kind:     global_buffer
      - .actual_access:  write_only
        .address_space:  global
        .offset:         96
        .size:           8
        .value_kind:     global_buffer
    .group_segment_fixed_size: 0
    .kernarg_segment_align: 8
    .kernarg_segment_size: 104
    .language:       OpenCL C
    .language_version:
      - 2
      - 0
    .max_flat_workgroup_size: 60
    .name:           fft_rtc_fwd_len150_factors_10_5_3_wgs_60_tpt_5_halfLds_half_op_CI_CI_sbrr_dirReg
    .private_segment_fixed_size: 0
    .sgpr_count:     36
    .sgpr_spill_count: 0
    .symbol:         fft_rtc_fwd_len150_factors_10_5_3_wgs_60_tpt_5_halfLds_half_op_CI_CI_sbrr_dirReg.kd
    .uniform_work_group_size: 1
    .uses_dynamic_stack: false
    .vgpr_count:     119
    .vgpr_spill_count: 0
    .wavefront_size: 64
amdhsa.target:   amdgcn-amd-amdhsa--gfx906
amdhsa.version:
  - 1
  - 2
...

	.end_amdgpu_metadata
